;; amdgpu-corpus repo=zjin-lcf/HeCBench kind=compiled arch=gfx1250 opt=O3
	.amdgcn_target "amdgcn-amd-amdhsa--gfx1250"
	.amdhsa_code_object_version 6
	.section	.text._Z6conv1dIdEvPKT_PS0_ii,"axG",@progbits,_Z6conv1dIdEvPKT_PS0_ii,comdat
	.protected	_Z6conv1dIdEvPKT_PS0_ii ; -- Begin function _Z6conv1dIdEvPKT_PS0_ii
	.globl	_Z6conv1dIdEvPKT_PS0_ii
	.p2align	8
	.type	_Z6conv1dIdEvPKT_PS0_ii,@function
_Z6conv1dIdEvPKT_PS0_ii:                ; @_Z6conv1dIdEvPKT_PS0_ii
; %bb.0:
	s_clause 0x1
	s_load_b32 s2, s[0:1], 0x24
	s_load_b128 s[4:7], s[0:1], 0x8
	s_bfe_u32 s3, ttmp6, 0x4000c
	s_and_b32 s8, ttmp6, 15
	s_add_co_i32 s3, s3, 1
	s_getreg_b32 s9, hwreg(HW_REG_IB_STS2, 6, 4)
	s_mul_i32 s3, ttmp9, s3
	s_delay_alu instid0(SALU_CYCLE_1)
	s_add_co_i32 s8, s8, s3
	s_wait_kmcnt 0x0
	s_and_b32 s2, s2, 0xffff
	s_cmp_eq_u32 s9, 0
	s_cselect_b32 s3, ttmp9, s8
	s_cmp_lt_i32 s7, 1
	v_mad_u32 v2, s3, s2, v0
	s_cbranch_scc1 .LBB0_5
; %bb.1:
	s_load_b64 s[2:3], s[0:1], 0x0
	s_wait_xcnt 0x0
	s_lshr_b32 s0, s7, 31
	v_mov_b64_e32 v[0:1], 0
	s_add_co_i32 s0, s7, s0
	s_get_pc_i64 s[8:9]
	s_add_nc_u64 s[8:9], s[8:9], _Z4maskIdE@rel64+4
	s_ashr_i32 s0, s0, 1
	s_delay_alu instid0(VALU_DEP_2) | instid1(SALU_CYCLE_1)
	v_subrev_nc_u32_e32 v3, s0, v2
	s_branch .LBB0_3
.LBB0_2:                                ;   in Loop: Header=BB0_3 Depth=1
	s_or_b32 exec_lo, exec_lo, s0
	v_add_nc_u32_e32 v3, 1, v3
	s_add_co_i32 s7, s7, -1
	s_add_nc_u64 s[8:9], s[8:9], 8
	s_cmp_eq_u32 s7, 0
	s_cbranch_scc1 .LBB0_6
.LBB0_3:                                ; =>This Inner Loop Header: Depth=1
	s_delay_alu instid0(VALU_DEP_1) | instskip(SKIP_2) | instid1(SALU_CYCLE_1)
	v_cmp_lt_i32_e32 vcc_lo, -1, v3
	v_cmp_gt_i32_e64 s0, s6, v3
	s_and_b32 s1, vcc_lo, s0
	s_and_saveexec_b32 s0, s1
	s_cbranch_execz .LBB0_2
; %bb.4:                                ;   in Loop: Header=BB0_3 Depth=1
	s_wait_kmcnt 0x0
	global_load_b64 v[4:5], v3, s[2:3] scale_offset
	s_load_b64 s[10:11], s[8:9], 0x0
	s_wait_loadcnt 0x0
	s_wait_kmcnt 0x0
	v_fmac_f64_e32 v[0:1], s[10:11], v[4:5]
	s_branch .LBB0_2
.LBB0_5:
	v_mov_b64_e32 v[0:1], 0
.LBB0_6:
	global_store_b64 v2, v[0:1], s[4:5] scale_offset
	s_endpgm
	.section	.rodata,"a",@progbits
	.p2align	6, 0x0
	.amdhsa_kernel _Z6conv1dIdEvPKT_PS0_ii
		.amdhsa_group_segment_fixed_size 0
		.amdhsa_private_segment_fixed_size 0
		.amdhsa_kernarg_size 280
		.amdhsa_user_sgpr_count 2
		.amdhsa_user_sgpr_dispatch_ptr 0
		.amdhsa_user_sgpr_queue_ptr 0
		.amdhsa_user_sgpr_kernarg_segment_ptr 1
		.amdhsa_user_sgpr_dispatch_id 0
		.amdhsa_user_sgpr_kernarg_preload_length 0
		.amdhsa_user_sgpr_kernarg_preload_offset 0
		.amdhsa_user_sgpr_private_segment_size 0
		.amdhsa_wavefront_size32 1
		.amdhsa_uses_dynamic_stack 0
		.amdhsa_enable_private_segment 0
		.amdhsa_system_sgpr_workgroup_id_x 1
		.amdhsa_system_sgpr_workgroup_id_y 0
		.amdhsa_system_sgpr_workgroup_id_z 0
		.amdhsa_system_sgpr_workgroup_info 0
		.amdhsa_system_vgpr_workitem_id 0
		.amdhsa_next_free_vgpr 6
		.amdhsa_next_free_sgpr 12
		.amdhsa_named_barrier_count 0
		.amdhsa_reserve_vcc 1
		.amdhsa_float_round_mode_32 0
		.amdhsa_float_round_mode_16_64 0
		.amdhsa_float_denorm_mode_32 3
		.amdhsa_float_denorm_mode_16_64 3
		.amdhsa_fp16_overflow 0
		.amdhsa_memory_ordered 1
		.amdhsa_forward_progress 1
		.amdhsa_inst_pref_size 2
		.amdhsa_round_robin_scheduling 0
		.amdhsa_exception_fp_ieee_invalid_op 0
		.amdhsa_exception_fp_denorm_src 0
		.amdhsa_exception_fp_ieee_div_zero 0
		.amdhsa_exception_fp_ieee_overflow 0
		.amdhsa_exception_fp_ieee_underflow 0
		.amdhsa_exception_fp_ieee_inexact 0
		.amdhsa_exception_int_div_zero 0
	.end_amdhsa_kernel
	.section	.text._Z6conv1dIdEvPKT_PS0_ii,"axG",@progbits,_Z6conv1dIdEvPKT_PS0_ii,comdat
.Lfunc_end0:
	.size	_Z6conv1dIdEvPKT_PS0_ii, .Lfunc_end0-_Z6conv1dIdEvPKT_PS0_ii
                                        ; -- End function
	.set _Z6conv1dIdEvPKT_PS0_ii.num_vgpr, 6
	.set _Z6conv1dIdEvPKT_PS0_ii.num_agpr, 0
	.set _Z6conv1dIdEvPKT_PS0_ii.numbered_sgpr, 12
	.set _Z6conv1dIdEvPKT_PS0_ii.num_named_barrier, 0
	.set _Z6conv1dIdEvPKT_PS0_ii.private_seg_size, 0
	.set _Z6conv1dIdEvPKT_PS0_ii.uses_vcc, 1
	.set _Z6conv1dIdEvPKT_PS0_ii.uses_flat_scratch, 0
	.set _Z6conv1dIdEvPKT_PS0_ii.has_dyn_sized_stack, 0
	.set _Z6conv1dIdEvPKT_PS0_ii.has_recursion, 0
	.set _Z6conv1dIdEvPKT_PS0_ii.has_indirect_call, 0
	.section	.AMDGPU.csdata,"",@progbits
; Kernel info:
; codeLenInByte = 256
; TotalNumSgprs: 14
; NumVgprs: 6
; ScratchSize: 0
; MemoryBound: 0
; FloatMode: 240
; IeeeMode: 1
; LDSByteSize: 0 bytes/workgroup (compile time only)
; SGPRBlocks: 0
; VGPRBlocks: 0
; NumSGPRsForWavesPerEU: 14
; NumVGPRsForWavesPerEU: 6
; NamedBarCnt: 0
; Occupancy: 16
; WaveLimiterHint : 0
; COMPUTE_PGM_RSRC2:SCRATCH_EN: 0
; COMPUTE_PGM_RSRC2:USER_SGPR: 2
; COMPUTE_PGM_RSRC2:TRAP_HANDLER: 0
; COMPUTE_PGM_RSRC2:TGID_X_EN: 1
; COMPUTE_PGM_RSRC2:TGID_Y_EN: 0
; COMPUTE_PGM_RSRC2:TGID_Z_EN: 0
; COMPUTE_PGM_RSRC2:TIDIG_COMP_CNT: 0
	.section	.text._Z12conv1d_tiledIdEvPKT_PS0_ii,"axG",@progbits,_Z12conv1d_tiledIdEvPKT_PS0_ii,comdat
	.protected	_Z12conv1d_tiledIdEvPKT_PS0_ii ; -- Begin function _Z12conv1d_tiledIdEvPKT_PS0_ii
	.globl	_Z12conv1d_tiledIdEvPKT_PS0_ii
	.p2align	8
	.type	_Z12conv1d_tiledIdEvPKT_PS0_ii,@function
_Z12conv1d_tiledIdEvPKT_PS0_ii:         ; @_Z12conv1d_tiledIdEvPKT_PS0_ii
; %bb.0:
	s_clause 0x1
	s_load_b64 s[4:5], s[0:1], 0x10
	s_load_b32 s6, s[0:1], 0x24
	s_bfe_u32 s7, ttmp6, 0x4000c
	s_wait_xcnt 0x0
	s_load_b128 s[0:3], s[0:1], 0x0
	s_add_co_i32 s7, s7, 1
	s_and_b32 s8, ttmp6, 15
	s_mul_i32 s7, ttmp9, s7
	s_getreg_b32 s9, hwreg(HW_REG_IB_STS2, 6, 4)
	s_add_co_i32 s8, s8, s7
	s_cmp_eq_u32 s9, 0
	s_cselect_b32 s8, ttmp9, s8
	s_wait_kmcnt 0x0
	s_lshr_b32 s7, s5, 31
	s_and_b32 s6, s6, 0xffff
	s_add_co_i32 s7, s5, s7
	s_delay_alu instid0(SALU_CYCLE_1) | instskip(NEXT) | instid1(SALU_CYCLE_1)
	s_ashr_i32 s7, s7, 1
	s_sub_co_i32 s9, s6, s7
	s_delay_alu instid0(SALU_CYCLE_1)
	v_cmp_le_u32_e32 vcc_lo, s9, v0
	s_and_saveexec_b32 s9, vcc_lo
	s_cbranch_execz .LBB1_4
; %bb.1:
	s_add_co_i32 s10, s8, -1
	v_mov_b64_e32 v[2:3], 0
	v_mad_u32 v1, s10, s6, v0
	s_mov_b32 s10, exec_lo
	s_delay_alu instid0(VALU_DEP_1)
	v_cmpx_lt_i32_e32 -1, v1
	s_cbranch_execz .LBB1_3
; %bb.2:
	global_load_b64 v[2:3], v1, s[0:1] scale_offset
.LBB1_3:
	s_wait_xcnt 0x0
	s_or_b32 exec_lo, exec_lo, s10
	v_lshlrev_b32_e32 v1, 3, v0
	s_sub_co_i32 s10, s7, s6
	s_delay_alu instid0(SALU_CYCLE_1)
	s_lshl_b32 s10, s10, 3
	s_delay_alu instid0(VALU_DEP_1) | instid1(SALU_CYCLE_1)
	v_add3_u32 v1, 0, s10, v1
	s_wait_loadcnt 0x0
	ds_store_b64 v1, v[2:3]
.LBB1_4:
	s_or_b32 exec_lo, exec_lo, s9
	v_mad_u32 v1, s8, s6, v0
	v_lshlrev_b32_e32 v4, 3, v0
	s_lshl_b32 s8, s7, 3
	v_cmp_gt_u32_e32 vcc_lo, s7, v0
	s_delay_alu instid0(VALU_DEP_2)
	v_add3_u32 v5, 0, s8, v4
	global_load_b64 v[2:3], v1, s[0:1] scale_offset
	s_wait_loadcnt 0x0
	ds_store_b64 v5, v[2:3]
	s_and_saveexec_b32 s7, vcc_lo
	s_cbranch_execz .LBB1_8
; %bb.5:
	v_add_nc_u32_e32 v5, s6, v1
	v_mov_b64_e32 v[2:3], 0
	s_delay_alu instid0(VALU_DEP_2)
	v_cmp_gt_i32_e32 vcc_lo, s4, v5
	s_and_saveexec_b32 s4, vcc_lo
	s_cbranch_execz .LBB1_7
; %bb.6:
	global_load_b64 v[2:3], v5, s[0:1] scale_offset
.LBB1_7:
	s_wait_xcnt 0x0
	s_or_b32 exec_lo, exec_lo, s4
	s_lshl_b32 s0, s6, 3
	s_delay_alu instid0(SALU_CYCLE_1) | instskip(NEXT) | instid1(SALU_CYCLE_1)
	s_add_co_i32 s8, s8, s0
	v_add3_u32 v4, s8, 0, v4
	s_wait_loadcnt 0x0
	ds_store_b64 v4, v[2:3]
.LBB1_8:
	s_or_b32 exec_lo, exec_lo, s7
	v_mov_b64_e32 v[2:3], 0
	s_cmp_lt_i32 s5, 1
	s_wait_dscnt 0x0
	s_barrier_signal -1
	s_barrier_wait -1
	s_cbranch_scc1 .LBB1_11
; %bb.9:
	v_lshl_add_u32 v0, v0, 3, 0
	s_get_pc_i64 s[0:1]
	s_add_nc_u64 s[0:1], s[0:1], _Z4maskIdE@rel64+4
.LBB1_10:                               ; =>This Inner Loop Header: Depth=1
	ds_load_b64 v[4:5], v0
	s_load_b64 s[6:7], s[0:1], 0x0
	v_add_nc_u32_e32 v0, 8, v0
	s_add_co_i32 s5, s5, -1
	s_wait_xcnt 0x0
	s_add_nc_u64 s[0:1], s[0:1], 8
	s_cmp_eq_u32 s5, 0
	s_wait_dscnt 0x0
	s_wait_kmcnt 0x0
	v_fmac_f64_e32 v[2:3], s[6:7], v[4:5]
	s_cbranch_scc0 .LBB1_10
.LBB1_11:
	global_store_b64 v1, v[2:3], s[2:3] scale_offset
	s_endpgm
	.section	.rodata,"a",@progbits
	.p2align	6, 0x0
	.amdhsa_kernel _Z12conv1d_tiledIdEvPKT_PS0_ii
		.amdhsa_group_segment_fixed_size 0
		.amdhsa_private_segment_fixed_size 0
		.amdhsa_kernarg_size 280
		.amdhsa_user_sgpr_count 2
		.amdhsa_user_sgpr_dispatch_ptr 0
		.amdhsa_user_sgpr_queue_ptr 0
		.amdhsa_user_sgpr_kernarg_segment_ptr 1
		.amdhsa_user_sgpr_dispatch_id 0
		.amdhsa_user_sgpr_kernarg_preload_length 0
		.amdhsa_user_sgpr_kernarg_preload_offset 0
		.amdhsa_user_sgpr_private_segment_size 0
		.amdhsa_wavefront_size32 1
		.amdhsa_uses_dynamic_stack 0
		.amdhsa_enable_private_segment 0
		.amdhsa_system_sgpr_workgroup_id_x 1
		.amdhsa_system_sgpr_workgroup_id_y 0
		.amdhsa_system_sgpr_workgroup_id_z 0
		.amdhsa_system_sgpr_workgroup_info 0
		.amdhsa_system_vgpr_workitem_id 0
		.amdhsa_next_free_vgpr 6
		.amdhsa_next_free_sgpr 11
		.amdhsa_named_barrier_count 0
		.amdhsa_reserve_vcc 1
		.amdhsa_float_round_mode_32 0
		.amdhsa_float_round_mode_16_64 0
		.amdhsa_float_denorm_mode_32 3
		.amdhsa_float_denorm_mode_16_64 3
		.amdhsa_fp16_overflow 0
		.amdhsa_memory_ordered 1
		.amdhsa_forward_progress 1
		.amdhsa_inst_pref_size 4
		.amdhsa_round_robin_scheduling 0
		.amdhsa_exception_fp_ieee_invalid_op 0
		.amdhsa_exception_fp_denorm_src 0
		.amdhsa_exception_fp_ieee_div_zero 0
		.amdhsa_exception_fp_ieee_overflow 0
		.amdhsa_exception_fp_ieee_underflow 0
		.amdhsa_exception_fp_ieee_inexact 0
		.amdhsa_exception_int_div_zero 0
	.end_amdhsa_kernel
	.section	.text._Z12conv1d_tiledIdEvPKT_PS0_ii,"axG",@progbits,_Z12conv1d_tiledIdEvPKT_PS0_ii,comdat
.Lfunc_end1:
	.size	_Z12conv1d_tiledIdEvPKT_PS0_ii, .Lfunc_end1-_Z12conv1d_tiledIdEvPKT_PS0_ii
                                        ; -- End function
	.set _Z12conv1d_tiledIdEvPKT_PS0_ii.num_vgpr, 6
	.set _Z12conv1d_tiledIdEvPKT_PS0_ii.num_agpr, 0
	.set _Z12conv1d_tiledIdEvPKT_PS0_ii.numbered_sgpr, 11
	.set _Z12conv1d_tiledIdEvPKT_PS0_ii.num_named_barrier, 0
	.set _Z12conv1d_tiledIdEvPKT_PS0_ii.private_seg_size, 0
	.set _Z12conv1d_tiledIdEvPKT_PS0_ii.uses_vcc, 1
	.set _Z12conv1d_tiledIdEvPKT_PS0_ii.uses_flat_scratch, 0
	.set _Z12conv1d_tiledIdEvPKT_PS0_ii.has_dyn_sized_stack, 0
	.set _Z12conv1d_tiledIdEvPKT_PS0_ii.has_recursion, 0
	.set _Z12conv1d_tiledIdEvPKT_PS0_ii.has_indirect_call, 0
	.section	.AMDGPU.csdata,"",@progbits
; Kernel info:
; codeLenInByte = 472
; TotalNumSgprs: 13
; NumVgprs: 6
; ScratchSize: 0
; MemoryBound: 0
; FloatMode: 240
; IeeeMode: 1
; LDSByteSize: 0 bytes/workgroup (compile time only)
; SGPRBlocks: 0
; VGPRBlocks: 0
; NumSGPRsForWavesPerEU: 13
; NumVGPRsForWavesPerEU: 6
; NamedBarCnt: 0
; Occupancy: 16
; WaveLimiterHint : 0
; COMPUTE_PGM_RSRC2:SCRATCH_EN: 0
; COMPUTE_PGM_RSRC2:USER_SGPR: 2
; COMPUTE_PGM_RSRC2:TRAP_HANDLER: 0
; COMPUTE_PGM_RSRC2:TGID_X_EN: 1
; COMPUTE_PGM_RSRC2:TGID_Y_EN: 0
; COMPUTE_PGM_RSRC2:TGID_Z_EN: 0
; COMPUTE_PGM_RSRC2:TIDIG_COMP_CNT: 0
	.section	.text._Z20conv1d_tiled_cachingIdEvPKT_PS0_ii,"axG",@progbits,_Z20conv1d_tiled_cachingIdEvPKT_PS0_ii,comdat
	.protected	_Z20conv1d_tiled_cachingIdEvPKT_PS0_ii ; -- Begin function _Z20conv1d_tiled_cachingIdEvPKT_PS0_ii
	.globl	_Z20conv1d_tiled_cachingIdEvPKT_PS0_ii
	.p2align	8
	.type	_Z20conv1d_tiled_cachingIdEvPKT_PS0_ii,@function
_Z20conv1d_tiled_cachingIdEvPKT_PS0_ii: ; @_Z20conv1d_tiled_cachingIdEvPKT_PS0_ii
; %bb.0:
	s_clause 0x1
	s_load_b32 s2, s[0:1], 0x24
	s_load_b64 s[4:5], s[0:1], 0x0
	s_bfe_u32 s3, ttmp6, 0x4000c
	s_and_b32 s6, ttmp6, 15
	s_add_co_i32 s3, s3, 1
	s_getreg_b32 s7, hwreg(HW_REG_IB_STS2, 6, 4)
	s_mul_i32 s3, ttmp9, s3
	v_lshl_add_u32 v1, v0, 3, 0
	s_add_co_i32 s6, s6, s3
	s_wait_kmcnt 0x0
	s_and_b32 s2, s2, 0xffff
	s_cmp_eq_u32 s7, 0
	s_cselect_b32 s3, ttmp9, s6
	s_load_b64 s[6:7], s[0:1], 0x10
	s_mul_i32 s3, s3, s2
	s_delay_alu instid0(SALU_CYCLE_1)
	v_add_nc_u32_e32 v2, s3, v0
	global_load_b64 v[4:5], v2, s[4:5] scale_offset
	v_ashrrev_i32_e32 v3, 31, v2
	s_wait_kmcnt 0x0
	s_cmp_lt_i32 s7, 1
	s_wait_loadcnt 0x0
	ds_store_b64 v1, v[4:5]
	s_wait_dscnt 0x0
	s_barrier_signal -1
	s_barrier_wait -1
	s_cbranch_scc1 .LBB2_9
; %bb.1:
	s_lshr_b32 s8, s7, 31
	s_add_co_i32 s10, s3, s2
	s_add_co_i32 s8, s7, s8
	s_delay_alu instid0(SALU_CYCLE_1) | instskip(NEXT) | instid1(SALU_CYCLE_1)
	s_ashr_i32 s8, s8, 1
	v_subrev_nc_u32_e32 v4, s8, v0
	v_mov_b64_e32 v[0:1], 0
	v_subrev_nc_u32_e32 v6, s8, v2
	s_get_pc_i64 s[8:9]
	s_add_nc_u64 s[8:9], s[8:9], _Z4maskIdE@rel64+4
	v_lshl_add_u32 v7, v4, 3, 0
	s_branch .LBB2_4
.LBB2_2:                                ;   in Loop: Header=BB2_4 Depth=1
	s_or_b32 exec_lo, exec_lo, s2
	s_load_b64 s[12:13], s[8:9], 0x0
	s_wait_loadcnt_dscnt 0x0
	s_wait_kmcnt 0x0
	v_fmac_f64_e32 v[0:1], s[12:13], v[4:5]
.LBB2_3:                                ;   in Loop: Header=BB2_4 Depth=1
	s_or_b32 exec_lo, exec_lo, s11
	v_dual_add_nc_u32 v7, 8, v7 :: v_dual_add_nc_u32 v6, 1, v6
	s_add_co_i32 s7, s7, -1
	s_add_nc_u64 s[8:9], s[8:9], 8
	s_cmp_eq_u32 s7, 0
	s_cbranch_scc1 .LBB2_10
.LBB2_4:                                ; =>This Inner Loop Header: Depth=1
	v_cmp_lt_i32_e32 vcc_lo, -1, v6
	v_cmp_gt_i32_e64 s2, s6, v6
	s_and_b32 s2, vcc_lo, s2
	s_delay_alu instid0(SALU_CYCLE_1)
	s_and_saveexec_b32 s11, s2
	s_cbranch_execz .LBB2_3
; %bb.5:                                ;   in Loop: Header=BB2_4 Depth=1
	v_cmp_gt_i32_e32 vcc_lo, s3, v6
	v_cmp_le_i32_e64 s2, s10, v6
                                        ; implicit-def: $vgpr4_vgpr5
	s_or_b32 s2, vcc_lo, s2
	s_delay_alu instid0(SALU_CYCLE_1) | instskip(NEXT) | instid1(SALU_CYCLE_1)
	s_and_saveexec_b32 s12, s2
	s_xor_b32 s2, exec_lo, s12
	s_cbranch_execz .LBB2_7
; %bb.6:                                ;   in Loop: Header=BB2_4 Depth=1
	global_load_b64 v[4:5], v6, s[4:5] scale_offset
.LBB2_7:                                ;   in Loop: Header=BB2_4 Depth=1
	s_wait_xcnt 0x0
	s_and_not1_saveexec_b32 s2, s2
	s_cbranch_execz .LBB2_2
; %bb.8:                                ;   in Loop: Header=BB2_4 Depth=1
	s_wait_loadcnt 0x0
	ds_load_b64 v[4:5], v7
	s_branch .LBB2_2
.LBB2_9:
	v_mov_b64_e32 v[0:1], 0
.LBB2_10:
	s_load_b64 s[0:1], s[0:1], 0x8
	s_wait_kmcnt 0x0
	v_lshl_add_u64 v[2:3], v[2:3], 3, s[0:1]
	global_store_b64 v[2:3], v[0:1], off
	s_endpgm
	.section	.rodata,"a",@progbits
	.p2align	6, 0x0
	.amdhsa_kernel _Z20conv1d_tiled_cachingIdEvPKT_PS0_ii
		.amdhsa_group_segment_fixed_size 0
		.amdhsa_private_segment_fixed_size 0
		.amdhsa_kernarg_size 280
		.amdhsa_user_sgpr_count 2
		.amdhsa_user_sgpr_dispatch_ptr 0
		.amdhsa_user_sgpr_queue_ptr 0
		.amdhsa_user_sgpr_kernarg_segment_ptr 1
		.amdhsa_user_sgpr_dispatch_id 0
		.amdhsa_user_sgpr_kernarg_preload_length 0
		.amdhsa_user_sgpr_kernarg_preload_offset 0
		.amdhsa_user_sgpr_private_segment_size 0
		.amdhsa_wavefront_size32 1
		.amdhsa_uses_dynamic_stack 0
		.amdhsa_enable_private_segment 0
		.amdhsa_system_sgpr_workgroup_id_x 1
		.amdhsa_system_sgpr_workgroup_id_y 0
		.amdhsa_system_sgpr_workgroup_id_z 0
		.amdhsa_system_sgpr_workgroup_info 0
		.amdhsa_system_vgpr_workitem_id 0
		.amdhsa_next_free_vgpr 8
		.amdhsa_next_free_sgpr 14
		.amdhsa_named_barrier_count 0
		.amdhsa_reserve_vcc 1
		.amdhsa_float_round_mode_32 0
		.amdhsa_float_round_mode_16_64 0
		.amdhsa_float_denorm_mode_32 3
		.amdhsa_float_denorm_mode_16_64 3
		.amdhsa_fp16_overflow 0
		.amdhsa_memory_ordered 1
		.amdhsa_forward_progress 1
		.amdhsa_inst_pref_size 4
		.amdhsa_round_robin_scheduling 0
		.amdhsa_exception_fp_ieee_invalid_op 0
		.amdhsa_exception_fp_denorm_src 0
		.amdhsa_exception_fp_ieee_div_zero 0
		.amdhsa_exception_fp_ieee_overflow 0
		.amdhsa_exception_fp_ieee_underflow 0
		.amdhsa_exception_fp_ieee_inexact 0
		.amdhsa_exception_int_div_zero 0
	.end_amdhsa_kernel
	.section	.text._Z20conv1d_tiled_cachingIdEvPKT_PS0_ii,"axG",@progbits,_Z20conv1d_tiled_cachingIdEvPKT_PS0_ii,comdat
.Lfunc_end2:
	.size	_Z20conv1d_tiled_cachingIdEvPKT_PS0_ii, .Lfunc_end2-_Z20conv1d_tiled_cachingIdEvPKT_PS0_ii
                                        ; -- End function
	.set _Z20conv1d_tiled_cachingIdEvPKT_PS0_ii.num_vgpr, 8
	.set _Z20conv1d_tiled_cachingIdEvPKT_PS0_ii.num_agpr, 0
	.set _Z20conv1d_tiled_cachingIdEvPKT_PS0_ii.numbered_sgpr, 14
	.set _Z20conv1d_tiled_cachingIdEvPKT_PS0_ii.num_named_barrier, 0
	.set _Z20conv1d_tiled_cachingIdEvPKT_PS0_ii.private_seg_size, 0
	.set _Z20conv1d_tiled_cachingIdEvPKT_PS0_ii.uses_vcc, 1
	.set _Z20conv1d_tiled_cachingIdEvPKT_PS0_ii.uses_flat_scratch, 0
	.set _Z20conv1d_tiled_cachingIdEvPKT_PS0_ii.has_dyn_sized_stack, 0
	.set _Z20conv1d_tiled_cachingIdEvPKT_PS0_ii.has_recursion, 0
	.set _Z20conv1d_tiled_cachingIdEvPKT_PS0_ii.has_indirect_call, 0
	.section	.AMDGPU.csdata,"",@progbits
; Kernel info:
; codeLenInByte = 404
; TotalNumSgprs: 16
; NumVgprs: 8
; ScratchSize: 0
; MemoryBound: 0
; FloatMode: 240
; IeeeMode: 1
; LDSByteSize: 0 bytes/workgroup (compile time only)
; SGPRBlocks: 0
; VGPRBlocks: 0
; NumSGPRsForWavesPerEU: 16
; NumVGPRsForWavesPerEU: 8
; NamedBarCnt: 0
; Occupancy: 16
; WaveLimiterHint : 0
; COMPUTE_PGM_RSRC2:SCRATCH_EN: 0
; COMPUTE_PGM_RSRC2:USER_SGPR: 2
; COMPUTE_PGM_RSRC2:TRAP_HANDLER: 0
; COMPUTE_PGM_RSRC2:TGID_X_EN: 1
; COMPUTE_PGM_RSRC2:TGID_Y_EN: 0
; COMPUTE_PGM_RSRC2:TGID_Z_EN: 0
; COMPUTE_PGM_RSRC2:TIDIG_COMP_CNT: 0
	.section	.text._Z6conv1dIfEvPKT_PS0_ii,"axG",@progbits,_Z6conv1dIfEvPKT_PS0_ii,comdat
	.protected	_Z6conv1dIfEvPKT_PS0_ii ; -- Begin function _Z6conv1dIfEvPKT_PS0_ii
	.globl	_Z6conv1dIfEvPKT_PS0_ii
	.p2align	8
	.type	_Z6conv1dIfEvPKT_PS0_ii,@function
_Z6conv1dIfEvPKT_PS0_ii:                ; @_Z6conv1dIfEvPKT_PS0_ii
; %bb.0:
	s_clause 0x1
	s_load_b32 s2, s[0:1], 0x24
	s_load_b128 s[4:7], s[0:1], 0x8
	s_bfe_u32 s3, ttmp6, 0x4000c
	s_and_b32 s8, ttmp6, 15
	s_add_co_i32 s3, s3, 1
	s_getreg_b32 s9, hwreg(HW_REG_IB_STS2, 6, 4)
	s_mul_i32 s3, ttmp9, s3
	s_delay_alu instid0(SALU_CYCLE_1)
	s_add_co_i32 s8, s8, s3
	s_wait_kmcnt 0x0
	s_and_b32 s2, s2, 0xffff
	s_cmp_eq_u32 s9, 0
	s_cselect_b32 s3, ttmp9, s8
	s_cmp_lt_i32 s7, 1
	v_mad_u32 v0, s3, s2, v0
	s_cbranch_scc1 .LBB3_5
; %bb.1:
	s_load_b64 s[2:3], s[0:1], 0x0
	s_wait_xcnt 0x0
	s_lshr_b32 s0, s7, 31
	v_mov_b32_e32 v1, 0
	s_add_co_i32 s0, s7, s0
	s_get_pc_i64 s[8:9]
	s_add_nc_u64 s[8:9], s[8:9], _Z4maskIfE@rel64+4
	s_ashr_i32 s0, s0, 1
	s_delay_alu instid0(VALU_DEP_2) | instid1(SALU_CYCLE_1)
	v_subrev_nc_u32_e32 v2, s0, v0
	s_branch .LBB3_3
.LBB3_2:                                ;   in Loop: Header=BB3_3 Depth=1
	s_or_b32 exec_lo, exec_lo, s0
	v_add_nc_u32_e32 v2, 1, v2
	s_add_co_i32 s7, s7, -1
	s_add_nc_u64 s[8:9], s[8:9], 4
	s_cmp_eq_u32 s7, 0
	s_cbranch_scc1 .LBB3_6
.LBB3_3:                                ; =>This Inner Loop Header: Depth=1
	s_delay_alu instid0(VALU_DEP_1) | instskip(SKIP_2) | instid1(SALU_CYCLE_1)
	v_cmp_lt_i32_e32 vcc_lo, -1, v2
	v_cmp_gt_i32_e64 s0, s6, v2
	s_and_b32 s1, vcc_lo, s0
	s_and_saveexec_b32 s0, s1
	s_cbranch_execz .LBB3_2
; %bb.4:                                ;   in Loop: Header=BB3_3 Depth=1
	s_wait_kmcnt 0x0
	global_load_b32 v3, v2, s[2:3] scale_offset
	s_load_b32 s1, s[8:9], 0x0
	s_wait_loadcnt 0x0
	s_wait_kmcnt 0x0
	v_fmac_f32_e32 v1, s1, v3
	s_branch .LBB3_2
.LBB3_5:
	v_mov_b32_e32 v1, 0
.LBB3_6:
	global_store_b32 v0, v1, s[4:5] scale_offset
	s_endpgm
	.section	.rodata,"a",@progbits
	.p2align	6, 0x0
	.amdhsa_kernel _Z6conv1dIfEvPKT_PS0_ii
		.amdhsa_group_segment_fixed_size 0
		.amdhsa_private_segment_fixed_size 0
		.amdhsa_kernarg_size 280
		.amdhsa_user_sgpr_count 2
		.amdhsa_user_sgpr_dispatch_ptr 0
		.amdhsa_user_sgpr_queue_ptr 0
		.amdhsa_user_sgpr_kernarg_segment_ptr 1
		.amdhsa_user_sgpr_dispatch_id 0
		.amdhsa_user_sgpr_kernarg_preload_length 0
		.amdhsa_user_sgpr_kernarg_preload_offset 0
		.amdhsa_user_sgpr_private_segment_size 0
		.amdhsa_wavefront_size32 1
		.amdhsa_uses_dynamic_stack 0
		.amdhsa_enable_private_segment 0
		.amdhsa_system_sgpr_workgroup_id_x 1
		.amdhsa_system_sgpr_workgroup_id_y 0
		.amdhsa_system_sgpr_workgroup_id_z 0
		.amdhsa_system_sgpr_workgroup_info 0
		.amdhsa_system_vgpr_workitem_id 0
		.amdhsa_next_free_vgpr 4
		.amdhsa_next_free_sgpr 10
		.amdhsa_named_barrier_count 0
		.amdhsa_reserve_vcc 1
		.amdhsa_float_round_mode_32 0
		.amdhsa_float_round_mode_16_64 0
		.amdhsa_float_denorm_mode_32 3
		.amdhsa_float_denorm_mode_16_64 3
		.amdhsa_fp16_overflow 0
		.amdhsa_memory_ordered 1
		.amdhsa_forward_progress 1
		.amdhsa_inst_pref_size 2
		.amdhsa_round_robin_scheduling 0
		.amdhsa_exception_fp_ieee_invalid_op 0
		.amdhsa_exception_fp_denorm_src 0
		.amdhsa_exception_fp_ieee_div_zero 0
		.amdhsa_exception_fp_ieee_overflow 0
		.amdhsa_exception_fp_ieee_underflow 0
		.amdhsa_exception_fp_ieee_inexact 0
		.amdhsa_exception_int_div_zero 0
	.end_amdhsa_kernel
	.section	.text._Z6conv1dIfEvPKT_PS0_ii,"axG",@progbits,_Z6conv1dIfEvPKT_PS0_ii,comdat
.Lfunc_end3:
	.size	_Z6conv1dIfEvPKT_PS0_ii, .Lfunc_end3-_Z6conv1dIfEvPKT_PS0_ii
                                        ; -- End function
	.set _Z6conv1dIfEvPKT_PS0_ii.num_vgpr, 4
	.set _Z6conv1dIfEvPKT_PS0_ii.num_agpr, 0
	.set _Z6conv1dIfEvPKT_PS0_ii.numbered_sgpr, 10
	.set _Z6conv1dIfEvPKT_PS0_ii.num_named_barrier, 0
	.set _Z6conv1dIfEvPKT_PS0_ii.private_seg_size, 0
	.set _Z6conv1dIfEvPKT_PS0_ii.uses_vcc, 1
	.set _Z6conv1dIfEvPKT_PS0_ii.uses_flat_scratch, 0
	.set _Z6conv1dIfEvPKT_PS0_ii.has_dyn_sized_stack, 0
	.set _Z6conv1dIfEvPKT_PS0_ii.has_recursion, 0
	.set _Z6conv1dIfEvPKT_PS0_ii.has_indirect_call, 0
	.section	.AMDGPU.csdata,"",@progbits
; Kernel info:
; codeLenInByte = 256
; TotalNumSgprs: 12
; NumVgprs: 4
; ScratchSize: 0
; MemoryBound: 0
; FloatMode: 240
; IeeeMode: 1
; LDSByteSize: 0 bytes/workgroup (compile time only)
; SGPRBlocks: 0
; VGPRBlocks: 0
; NumSGPRsForWavesPerEU: 12
; NumVGPRsForWavesPerEU: 4
; NamedBarCnt: 0
; Occupancy: 16
; WaveLimiterHint : 0
; COMPUTE_PGM_RSRC2:SCRATCH_EN: 0
; COMPUTE_PGM_RSRC2:USER_SGPR: 2
; COMPUTE_PGM_RSRC2:TRAP_HANDLER: 0
; COMPUTE_PGM_RSRC2:TGID_X_EN: 1
; COMPUTE_PGM_RSRC2:TGID_Y_EN: 0
; COMPUTE_PGM_RSRC2:TGID_Z_EN: 0
; COMPUTE_PGM_RSRC2:TIDIG_COMP_CNT: 0
	.section	.text._Z12conv1d_tiledIfEvPKT_PS0_ii,"axG",@progbits,_Z12conv1d_tiledIfEvPKT_PS0_ii,comdat
	.protected	_Z12conv1d_tiledIfEvPKT_PS0_ii ; -- Begin function _Z12conv1d_tiledIfEvPKT_PS0_ii
	.globl	_Z12conv1d_tiledIfEvPKT_PS0_ii
	.p2align	8
	.type	_Z12conv1d_tiledIfEvPKT_PS0_ii,@function
_Z12conv1d_tiledIfEvPKT_PS0_ii:         ; @_Z12conv1d_tiledIfEvPKT_PS0_ii
; %bb.0:
	s_clause 0x1
	s_load_b64 s[4:5], s[0:1], 0x10
	s_load_b32 s6, s[0:1], 0x24
	s_bfe_u32 s7, ttmp6, 0x4000c
	s_wait_xcnt 0x0
	s_load_b128 s[0:3], s[0:1], 0x0
	s_add_co_i32 s7, s7, 1
	s_and_b32 s8, ttmp6, 15
	s_mul_i32 s7, ttmp9, s7
	s_getreg_b32 s9, hwreg(HW_REG_IB_STS2, 6, 4)
	s_add_co_i32 s8, s8, s7
	s_cmp_eq_u32 s9, 0
	s_cselect_b32 s8, ttmp9, s8
	s_wait_kmcnt 0x0
	s_lshr_b32 s7, s5, 31
	s_and_b32 s6, s6, 0xffff
	s_add_co_i32 s7, s5, s7
	s_delay_alu instid0(SALU_CYCLE_1) | instskip(NEXT) | instid1(SALU_CYCLE_1)
	s_ashr_i32 s7, s7, 1
	s_sub_co_i32 s9, s6, s7
	s_delay_alu instid0(SALU_CYCLE_1)
	v_cmp_le_u32_e32 vcc_lo, s9, v0
	s_and_saveexec_b32 s9, vcc_lo
	s_cbranch_execz .LBB4_4
; %bb.1:
	s_add_co_i32 s10, s8, -1
	v_mov_b32_e32 v1, 0
	v_mad_u32 v2, s10, s6, v0
	s_mov_b32 s10, exec_lo
	s_delay_alu instid0(VALU_DEP_1)
	v_cmpx_lt_i32_e32 -1, v2
	s_cbranch_execz .LBB4_3
; %bb.2:
	global_load_b32 v1, v2, s[0:1] scale_offset
.LBB4_3:
	s_wait_xcnt 0x0
	s_or_b32 exec_lo, exec_lo, s10
	v_lshlrev_b32_e32 v2, 2, v0
	s_sub_co_i32 s10, s7, s6
	s_delay_alu instid0(SALU_CYCLE_1)
	s_lshl_b32 s10, s10, 2
	s_delay_alu instid0(VALU_DEP_1) | instid1(SALU_CYCLE_1)
	v_add3_u32 v2, 0, s10, v2
	s_wait_loadcnt 0x0
	ds_store_b32 v2, v1
.LBB4_4:
	s_or_b32 exec_lo, exec_lo, s9
	v_mad_u32 v1, s8, s6, v0
	v_lshlrev_b32_e32 v2, 2, v0
	s_lshl_b32 s8, s7, 2
	v_cmp_gt_u32_e32 vcc_lo, s7, v0
	s_delay_alu instid0(VALU_DEP_2)
	v_add3_u32 v4, 0, s8, v2
	global_load_b32 v3, v1, s[0:1] scale_offset
	s_wait_loadcnt 0x0
	ds_store_b32 v4, v3
	s_and_saveexec_b32 s7, vcc_lo
	s_cbranch_execz .LBB4_8
; %bb.5:
	v_dual_mov_b32 v3, 0 :: v_dual_add_nc_u32 v4, s6, v1
	s_delay_alu instid0(VALU_DEP_1)
	v_cmp_gt_i32_e32 vcc_lo, s4, v4
	s_and_saveexec_b32 s4, vcc_lo
	s_cbranch_execz .LBB4_7
; %bb.6:
	global_load_b32 v3, v4, s[0:1] scale_offset
.LBB4_7:
	s_wait_xcnt 0x0
	s_or_b32 exec_lo, exec_lo, s4
	s_lshl_b32 s0, s6, 2
	s_delay_alu instid0(SALU_CYCLE_1) | instskip(NEXT) | instid1(SALU_CYCLE_1)
	s_add_co_i32 s8, s8, s0
	v_add3_u32 v2, s8, 0, v2
	s_wait_loadcnt 0x0
	ds_store_b32 v2, v3
.LBB4_8:
	s_or_b32 exec_lo, exec_lo, s7
	s_cmp_lt_i32 s5, 1
	s_wait_dscnt 0x0
	s_barrier_signal -1
	s_barrier_wait -1
	s_cbranch_scc1 .LBB4_12
; %bb.9:
	v_lshl_add_u32 v2, v0, 2, 0
	v_mov_b32_e32 v0, 0
	s_get_pc_i64 s[0:1]
	s_add_nc_u64 s[0:1], s[0:1], _Z4maskIfE@rel64+4
.LBB4_10:                               ; =>This Inner Loop Header: Depth=1
	ds_load_b32 v3, v2
	s_load_b32 s4, s[0:1], 0x0
	v_add_nc_u32_e32 v2, 4, v2
	s_add_co_i32 s5, s5, -1
	s_wait_xcnt 0x0
	s_add_nc_u64 s[0:1], s[0:1], 4
	s_cmp_eq_u32 s5, 0
	s_wait_dscnt 0x0
	s_wait_kmcnt 0x0
	v_fmac_f32_e32 v0, s4, v3
	s_cbranch_scc0 .LBB4_10
; %bb.11:
	global_store_b32 v1, v0, s[2:3] scale_offset
	s_endpgm
.LBB4_12:
	v_mov_b32_e32 v0, 0
	global_store_b32 v1, v0, s[2:3] scale_offset
	s_endpgm
	.section	.rodata,"a",@progbits
	.p2align	6, 0x0
	.amdhsa_kernel _Z12conv1d_tiledIfEvPKT_PS0_ii
		.amdhsa_group_segment_fixed_size 0
		.amdhsa_private_segment_fixed_size 0
		.amdhsa_kernarg_size 280
		.amdhsa_user_sgpr_count 2
		.amdhsa_user_sgpr_dispatch_ptr 0
		.amdhsa_user_sgpr_queue_ptr 0
		.amdhsa_user_sgpr_kernarg_segment_ptr 1
		.amdhsa_user_sgpr_dispatch_id 0
		.amdhsa_user_sgpr_kernarg_preload_length 0
		.amdhsa_user_sgpr_kernarg_preload_offset 0
		.amdhsa_user_sgpr_private_segment_size 0
		.amdhsa_wavefront_size32 1
		.amdhsa_uses_dynamic_stack 0
		.amdhsa_enable_private_segment 0
		.amdhsa_system_sgpr_workgroup_id_x 1
		.amdhsa_system_sgpr_workgroup_id_y 0
		.amdhsa_system_sgpr_workgroup_id_z 0
		.amdhsa_system_sgpr_workgroup_info 0
		.amdhsa_system_vgpr_workitem_id 0
		.amdhsa_next_free_vgpr 5
		.amdhsa_next_free_sgpr 11
		.amdhsa_named_barrier_count 0
		.amdhsa_reserve_vcc 1
		.amdhsa_float_round_mode_32 0
		.amdhsa_float_round_mode_16_64 0
		.amdhsa_float_denorm_mode_32 3
		.amdhsa_float_denorm_mode_16_64 3
		.amdhsa_fp16_overflow 0
		.amdhsa_memory_ordered 1
		.amdhsa_forward_progress 1
		.amdhsa_inst_pref_size 4
		.amdhsa_round_robin_scheduling 0
		.amdhsa_exception_fp_ieee_invalid_op 0
		.amdhsa_exception_fp_denorm_src 0
		.amdhsa_exception_fp_ieee_div_zero 0
		.amdhsa_exception_fp_ieee_overflow 0
		.amdhsa_exception_fp_ieee_underflow 0
		.amdhsa_exception_fp_ieee_inexact 0
		.amdhsa_exception_int_div_zero 0
	.end_amdhsa_kernel
	.section	.text._Z12conv1d_tiledIfEvPKT_PS0_ii,"axG",@progbits,_Z12conv1d_tiledIfEvPKT_PS0_ii,comdat
.Lfunc_end4:
	.size	_Z12conv1d_tiledIfEvPKT_PS0_ii, .Lfunc_end4-_Z12conv1d_tiledIfEvPKT_PS0_ii
                                        ; -- End function
	.set _Z12conv1d_tiledIfEvPKT_PS0_ii.num_vgpr, 5
	.set _Z12conv1d_tiledIfEvPKT_PS0_ii.num_agpr, 0
	.set _Z12conv1d_tiledIfEvPKT_PS0_ii.numbered_sgpr, 11
	.set _Z12conv1d_tiledIfEvPKT_PS0_ii.num_named_barrier, 0
	.set _Z12conv1d_tiledIfEvPKT_PS0_ii.private_seg_size, 0
	.set _Z12conv1d_tiledIfEvPKT_PS0_ii.uses_vcc, 1
	.set _Z12conv1d_tiledIfEvPKT_PS0_ii.uses_flat_scratch, 0
	.set _Z12conv1d_tiledIfEvPKT_PS0_ii.has_dyn_sized_stack, 0
	.set _Z12conv1d_tiledIfEvPKT_PS0_ii.has_recursion, 0
	.set _Z12conv1d_tiledIfEvPKT_PS0_ii.has_indirect_call, 0
	.section	.AMDGPU.csdata,"",@progbits
; Kernel info:
; codeLenInByte = 492
; TotalNumSgprs: 13
; NumVgprs: 5
; ScratchSize: 0
; MemoryBound: 0
; FloatMode: 240
; IeeeMode: 1
; LDSByteSize: 0 bytes/workgroup (compile time only)
; SGPRBlocks: 0
; VGPRBlocks: 0
; NumSGPRsForWavesPerEU: 13
; NumVGPRsForWavesPerEU: 5
; NamedBarCnt: 0
; Occupancy: 16
; WaveLimiterHint : 0
; COMPUTE_PGM_RSRC2:SCRATCH_EN: 0
; COMPUTE_PGM_RSRC2:USER_SGPR: 2
; COMPUTE_PGM_RSRC2:TRAP_HANDLER: 0
; COMPUTE_PGM_RSRC2:TGID_X_EN: 1
; COMPUTE_PGM_RSRC2:TGID_Y_EN: 0
; COMPUTE_PGM_RSRC2:TGID_Z_EN: 0
; COMPUTE_PGM_RSRC2:TIDIG_COMP_CNT: 0
	.section	.text._Z20conv1d_tiled_cachingIfEvPKT_PS0_ii,"axG",@progbits,_Z20conv1d_tiled_cachingIfEvPKT_PS0_ii,comdat
	.protected	_Z20conv1d_tiled_cachingIfEvPKT_PS0_ii ; -- Begin function _Z20conv1d_tiled_cachingIfEvPKT_PS0_ii
	.globl	_Z20conv1d_tiled_cachingIfEvPKT_PS0_ii
	.p2align	8
	.type	_Z20conv1d_tiled_cachingIfEvPKT_PS0_ii,@function
_Z20conv1d_tiled_cachingIfEvPKT_PS0_ii: ; @_Z20conv1d_tiled_cachingIfEvPKT_PS0_ii
; %bb.0:
	s_clause 0x1
	s_load_b32 s2, s[0:1], 0x24
	s_load_b64 s[4:5], s[0:1], 0x0
	s_bfe_u32 s3, ttmp6, 0x4000c
	s_and_b32 s6, ttmp6, 15
	s_add_co_i32 s3, s3, 1
	s_getreg_b32 s7, hwreg(HW_REG_IB_STS2, 6, 4)
	s_mul_i32 s3, ttmp9, s3
	v_lshl_add_u32 v4, v0, 2, 0
	s_add_co_i32 s6, s6, s3
	s_wait_kmcnt 0x0
	s_and_b32 s2, s2, 0xffff
	s_cmp_eq_u32 s7, 0
	s_cselect_b32 s3, ttmp9, s6
	s_load_b64 s[6:7], s[0:1], 0x10
	s_mul_i32 s3, s3, s2
	s_delay_alu instid0(SALU_CYCLE_1)
	v_add_nc_u32_e32 v2, s3, v0
	global_load_b32 v1, v2, s[4:5] scale_offset
	v_ashrrev_i32_e32 v3, 31, v2
	s_wait_kmcnt 0x0
	s_cmp_lt_i32 s7, 1
	s_wait_loadcnt 0x0
	ds_store_b32 v4, v1
	s_wait_dscnt 0x0
	s_barrier_signal -1
	s_barrier_wait -1
	s_cbranch_scc1 .LBB5_9
; %bb.1:
	s_lshr_b32 s8, s7, 31
	s_add_co_i32 s10, s3, s2
	s_add_co_i32 s8, s7, s8
	s_delay_alu instid0(SALU_CYCLE_1) | instskip(NEXT) | instid1(SALU_CYCLE_1)
	s_ashr_i32 s8, s8, 1
	v_subrev_nc_u32_e32 v4, s8, v0
	v_mov_b32_e32 v0, 0
	v_subrev_nc_u32_e32 v1, s8, v2
	s_get_pc_i64 s[8:9]
	s_add_nc_u64 s[8:9], s[8:9], _Z4maskIfE@rel64+4
	v_lshl_add_u32 v4, v4, 2, 0
	s_branch .LBB5_4
.LBB5_2:                                ;   in Loop: Header=BB5_4 Depth=1
	s_or_b32 exec_lo, exec_lo, s2
	s_load_b32 s2, s[8:9], 0x0
	s_wait_loadcnt_dscnt 0x0
	s_wait_kmcnt 0x0
	v_fmac_f32_e32 v0, s2, v5
.LBB5_3:                                ;   in Loop: Header=BB5_4 Depth=1
	s_or_b32 exec_lo, exec_lo, s11
	v_dual_add_nc_u32 v4, 4, v4 :: v_dual_add_nc_u32 v1, 1, v1
	s_add_co_i32 s7, s7, -1
	s_add_nc_u64 s[8:9], s[8:9], 4
	s_cmp_eq_u32 s7, 0
	s_cbranch_scc1 .LBB5_10
.LBB5_4:                                ; =>This Inner Loop Header: Depth=1
	v_cmp_lt_i32_e32 vcc_lo, -1, v1
	v_cmp_gt_i32_e64 s2, s6, v1
	s_and_b32 s2, vcc_lo, s2
	s_delay_alu instid0(SALU_CYCLE_1)
	s_and_saveexec_b32 s11, s2
	s_cbranch_execz .LBB5_3
; %bb.5:                                ;   in Loop: Header=BB5_4 Depth=1
	v_cmp_gt_i32_e32 vcc_lo, s3, v1
	v_cmp_le_i32_e64 s2, s10, v1
                                        ; implicit-def: $vgpr5
	s_or_b32 s2, vcc_lo, s2
	s_delay_alu instid0(SALU_CYCLE_1) | instskip(NEXT) | instid1(SALU_CYCLE_1)
	s_and_saveexec_b32 s12, s2
	s_xor_b32 s2, exec_lo, s12
	s_cbranch_execz .LBB5_7
; %bb.6:                                ;   in Loop: Header=BB5_4 Depth=1
	global_load_b32 v5, v1, s[4:5] scale_offset
.LBB5_7:                                ;   in Loop: Header=BB5_4 Depth=1
	s_wait_xcnt 0x0
	s_and_not1_saveexec_b32 s2, s2
	s_cbranch_execz .LBB5_2
; %bb.8:                                ;   in Loop: Header=BB5_4 Depth=1
	s_wait_loadcnt 0x0
	ds_load_b32 v5, v4
	s_branch .LBB5_2
.LBB5_9:
	v_mov_b32_e32 v0, 0
.LBB5_10:
	s_load_b64 s[0:1], s[0:1], 0x8
	s_wait_kmcnt 0x0
	v_lshl_add_u64 v[2:3], v[2:3], 2, s[0:1]
	global_store_b32 v[2:3], v0, off
	s_endpgm
	.section	.rodata,"a",@progbits
	.p2align	6, 0x0
	.amdhsa_kernel _Z20conv1d_tiled_cachingIfEvPKT_PS0_ii
		.amdhsa_group_segment_fixed_size 0
		.amdhsa_private_segment_fixed_size 0
		.amdhsa_kernarg_size 280
		.amdhsa_user_sgpr_count 2
		.amdhsa_user_sgpr_dispatch_ptr 0
		.amdhsa_user_sgpr_queue_ptr 0
		.amdhsa_user_sgpr_kernarg_segment_ptr 1
		.amdhsa_user_sgpr_dispatch_id 0
		.amdhsa_user_sgpr_kernarg_preload_length 0
		.amdhsa_user_sgpr_kernarg_preload_offset 0
		.amdhsa_user_sgpr_private_segment_size 0
		.amdhsa_wavefront_size32 1
		.amdhsa_uses_dynamic_stack 0
		.amdhsa_enable_private_segment 0
		.amdhsa_system_sgpr_workgroup_id_x 1
		.amdhsa_system_sgpr_workgroup_id_y 0
		.amdhsa_system_sgpr_workgroup_id_z 0
		.amdhsa_system_sgpr_workgroup_info 0
		.amdhsa_system_vgpr_workitem_id 0
		.amdhsa_next_free_vgpr 6
		.amdhsa_next_free_sgpr 13
		.amdhsa_named_barrier_count 0
		.amdhsa_reserve_vcc 1
		.amdhsa_float_round_mode_32 0
		.amdhsa_float_round_mode_16_64 0
		.amdhsa_float_denorm_mode_32 3
		.amdhsa_float_denorm_mode_16_64 3
		.amdhsa_fp16_overflow 0
		.amdhsa_memory_ordered 1
		.amdhsa_forward_progress 1
		.amdhsa_inst_pref_size 4
		.amdhsa_round_robin_scheduling 0
		.amdhsa_exception_fp_ieee_invalid_op 0
		.amdhsa_exception_fp_denorm_src 0
		.amdhsa_exception_fp_ieee_div_zero 0
		.amdhsa_exception_fp_ieee_overflow 0
		.amdhsa_exception_fp_ieee_underflow 0
		.amdhsa_exception_fp_ieee_inexact 0
		.amdhsa_exception_int_div_zero 0
	.end_amdhsa_kernel
	.section	.text._Z20conv1d_tiled_cachingIfEvPKT_PS0_ii,"axG",@progbits,_Z20conv1d_tiled_cachingIfEvPKT_PS0_ii,comdat
.Lfunc_end5:
	.size	_Z20conv1d_tiled_cachingIfEvPKT_PS0_ii, .Lfunc_end5-_Z20conv1d_tiled_cachingIfEvPKT_PS0_ii
                                        ; -- End function
	.set _Z20conv1d_tiled_cachingIfEvPKT_PS0_ii.num_vgpr, 6
	.set _Z20conv1d_tiled_cachingIfEvPKT_PS0_ii.num_agpr, 0
	.set _Z20conv1d_tiled_cachingIfEvPKT_PS0_ii.numbered_sgpr, 13
	.set _Z20conv1d_tiled_cachingIfEvPKT_PS0_ii.num_named_barrier, 0
	.set _Z20conv1d_tiled_cachingIfEvPKT_PS0_ii.private_seg_size, 0
	.set _Z20conv1d_tiled_cachingIfEvPKT_PS0_ii.uses_vcc, 1
	.set _Z20conv1d_tiled_cachingIfEvPKT_PS0_ii.uses_flat_scratch, 0
	.set _Z20conv1d_tiled_cachingIfEvPKT_PS0_ii.has_dyn_sized_stack, 0
	.set _Z20conv1d_tiled_cachingIfEvPKT_PS0_ii.has_recursion, 0
	.set _Z20conv1d_tiled_cachingIfEvPKT_PS0_ii.has_indirect_call, 0
	.section	.AMDGPU.csdata,"",@progbits
; Kernel info:
; codeLenInByte = 404
; TotalNumSgprs: 15
; NumVgprs: 6
; ScratchSize: 0
; MemoryBound: 0
; FloatMode: 240
; IeeeMode: 1
; LDSByteSize: 0 bytes/workgroup (compile time only)
; SGPRBlocks: 0
; VGPRBlocks: 0
; NumSGPRsForWavesPerEU: 15
; NumVGPRsForWavesPerEU: 6
; NamedBarCnt: 0
; Occupancy: 16
; WaveLimiterHint : 0
; COMPUTE_PGM_RSRC2:SCRATCH_EN: 0
; COMPUTE_PGM_RSRC2:USER_SGPR: 2
; COMPUTE_PGM_RSRC2:TRAP_HANDLER: 0
; COMPUTE_PGM_RSRC2:TGID_X_EN: 1
; COMPUTE_PGM_RSRC2:TGID_Y_EN: 0
; COMPUTE_PGM_RSRC2:TGID_Z_EN: 0
; COMPUTE_PGM_RSRC2:TIDIG_COMP_CNT: 0
	.section	.text._Z6conv1dIsEvPKT_PS0_ii,"axG",@progbits,_Z6conv1dIsEvPKT_PS0_ii,comdat
	.protected	_Z6conv1dIsEvPKT_PS0_ii ; -- Begin function _Z6conv1dIsEvPKT_PS0_ii
	.globl	_Z6conv1dIsEvPKT_PS0_ii
	.p2align	8
	.type	_Z6conv1dIsEvPKT_PS0_ii,@function
_Z6conv1dIsEvPKT_PS0_ii:                ; @_Z6conv1dIsEvPKT_PS0_ii
; %bb.0:
	s_clause 0x1
	s_load_b32 s2, s[0:1], 0x24
	s_load_b128 s[4:7], s[0:1], 0x8
	s_bfe_u32 s3, ttmp6, 0x4000c
	s_and_b32 s8, ttmp6, 15
	s_add_co_i32 s3, s3, 1
	s_getreg_b32 s9, hwreg(HW_REG_IB_STS2, 6, 4)
	s_mul_i32 s3, ttmp9, s3
	s_delay_alu instid0(SALU_CYCLE_1)
	s_add_co_i32 s8, s8, s3
	s_wait_kmcnt 0x0
	s_and_b32 s2, s2, 0xffff
	s_cmp_eq_u32 s9, 0
	s_cselect_b32 s3, ttmp9, s8
	s_cmp_lt_i32 s7, 1
	v_mad_u32 v0, s3, s2, v0
	s_cbranch_scc1 .LBB6_5
; %bb.1:
	s_load_b64 s[2:3], s[0:1], 0x0
	s_wait_xcnt 0x0
	s_lshr_b32 s0, s7, 31
	v_dual_mov_b32 v3, 0 :: v_dual_mov_b32 v1, 0
	s_add_co_i32 s0, s7, s0
	s_get_pc_i64 s[8:9]
	s_add_nc_u64 s[8:9], s[8:9], _Z4maskIsE@rel64+4
	s_ashr_i32 s0, s0, 1
	s_delay_alu instid0(VALU_DEP_2) | instid1(SALU_CYCLE_1)
	v_subrev_nc_u32_e32 v2, s0, v0
	s_branch .LBB6_3
.LBB6_2:                                ;   in Loop: Header=BB6_3 Depth=1
	s_or_b32 exec_lo, exec_lo, s0
	v_add_nc_u32_e32 v2, 1, v2
	s_add_co_i32 s7, s7, -1
	s_add_nc_u64 s[8:9], s[8:9], 2
	s_cmp_eq_u32 s7, 0
	s_cbranch_scc1 .LBB6_6
.LBB6_3:                                ; =>This Inner Loop Header: Depth=1
	s_delay_alu instid0(VALU_DEP_1) | instskip(SKIP_2) | instid1(SALU_CYCLE_1)
	v_cmp_lt_i32_e32 vcc_lo, -1, v2
	v_cmp_gt_i32_e64 s0, s6, v2
	s_and_b32 s1, vcc_lo, s0
	s_and_saveexec_b32 s0, s1
	s_cbranch_execz .LBB6_2
; %bb.4:                                ;   in Loop: Header=BB6_3 Depth=1
	s_wait_kmcnt 0x0
	global_load_u16 v4, v2, s[2:3] scale_offset
	global_load_u16 v5, v3, s[8:9]
	s_wait_loadcnt 0x0
	v_mad_u16 v1, v5, v4, v1
	s_branch .LBB6_2
.LBB6_5:
	v_mov_b32_e32 v1, 0
.LBB6_6:
	global_store_b16 v0, v1, s[4:5] scale_offset
	s_endpgm
	.section	.rodata,"a",@progbits
	.p2align	6, 0x0
	.amdhsa_kernel _Z6conv1dIsEvPKT_PS0_ii
		.amdhsa_group_segment_fixed_size 0
		.amdhsa_private_segment_fixed_size 0
		.amdhsa_kernarg_size 280
		.amdhsa_user_sgpr_count 2
		.amdhsa_user_sgpr_dispatch_ptr 0
		.amdhsa_user_sgpr_queue_ptr 0
		.amdhsa_user_sgpr_kernarg_segment_ptr 1
		.amdhsa_user_sgpr_dispatch_id 0
		.amdhsa_user_sgpr_kernarg_preload_length 0
		.amdhsa_user_sgpr_kernarg_preload_offset 0
		.amdhsa_user_sgpr_private_segment_size 0
		.amdhsa_wavefront_size32 1
		.amdhsa_uses_dynamic_stack 0
		.amdhsa_enable_private_segment 0
		.amdhsa_system_sgpr_workgroup_id_x 1
		.amdhsa_system_sgpr_workgroup_id_y 0
		.amdhsa_system_sgpr_workgroup_id_z 0
		.amdhsa_system_sgpr_workgroup_info 0
		.amdhsa_system_vgpr_workitem_id 0
		.amdhsa_next_free_vgpr 6
		.amdhsa_next_free_sgpr 10
		.amdhsa_named_barrier_count 0
		.amdhsa_reserve_vcc 1
		.amdhsa_float_round_mode_32 0
		.amdhsa_float_round_mode_16_64 0
		.amdhsa_float_denorm_mode_32 3
		.amdhsa_float_denorm_mode_16_64 3
		.amdhsa_fp16_overflow 0
		.amdhsa_memory_ordered 1
		.amdhsa_forward_progress 1
		.amdhsa_inst_pref_size 3
		.amdhsa_round_robin_scheduling 0
		.amdhsa_exception_fp_ieee_invalid_op 0
		.amdhsa_exception_fp_denorm_src 0
		.amdhsa_exception_fp_ieee_div_zero 0
		.amdhsa_exception_fp_ieee_overflow 0
		.amdhsa_exception_fp_ieee_underflow 0
		.amdhsa_exception_fp_ieee_inexact 0
		.amdhsa_exception_int_div_zero 0
	.end_amdhsa_kernel
	.section	.text._Z6conv1dIsEvPKT_PS0_ii,"axG",@progbits,_Z6conv1dIsEvPKT_PS0_ii,comdat
.Lfunc_end6:
	.size	_Z6conv1dIsEvPKT_PS0_ii, .Lfunc_end6-_Z6conv1dIsEvPKT_PS0_ii
                                        ; -- End function
	.set _Z6conv1dIsEvPKT_PS0_ii.num_vgpr, 6
	.set _Z6conv1dIsEvPKT_PS0_ii.num_agpr, 0
	.set _Z6conv1dIsEvPKT_PS0_ii.numbered_sgpr, 10
	.set _Z6conv1dIsEvPKT_PS0_ii.num_named_barrier, 0
	.set _Z6conv1dIsEvPKT_PS0_ii.private_seg_size, 0
	.set _Z6conv1dIsEvPKT_PS0_ii.uses_vcc, 1
	.set _Z6conv1dIsEvPKT_PS0_ii.uses_flat_scratch, 0
	.set _Z6conv1dIsEvPKT_PS0_ii.has_dyn_sized_stack, 0
	.set _Z6conv1dIsEvPKT_PS0_ii.has_recursion, 0
	.set _Z6conv1dIsEvPKT_PS0_ii.has_indirect_call, 0
	.section	.AMDGPU.csdata,"",@progbits
; Kernel info:
; codeLenInByte = 268
; TotalNumSgprs: 12
; NumVgprs: 6
; ScratchSize: 0
; MemoryBound: 0
; FloatMode: 240
; IeeeMode: 1
; LDSByteSize: 0 bytes/workgroup (compile time only)
; SGPRBlocks: 0
; VGPRBlocks: 0
; NumSGPRsForWavesPerEU: 12
; NumVGPRsForWavesPerEU: 6
; NamedBarCnt: 0
; Occupancy: 16
; WaveLimiterHint : 0
; COMPUTE_PGM_RSRC2:SCRATCH_EN: 0
; COMPUTE_PGM_RSRC2:USER_SGPR: 2
; COMPUTE_PGM_RSRC2:TRAP_HANDLER: 0
; COMPUTE_PGM_RSRC2:TGID_X_EN: 1
; COMPUTE_PGM_RSRC2:TGID_Y_EN: 0
; COMPUTE_PGM_RSRC2:TGID_Z_EN: 0
; COMPUTE_PGM_RSRC2:TIDIG_COMP_CNT: 0
	.section	.text._Z12conv1d_tiledIsEvPKT_PS0_ii,"axG",@progbits,_Z12conv1d_tiledIsEvPKT_PS0_ii,comdat
	.protected	_Z12conv1d_tiledIsEvPKT_PS0_ii ; -- Begin function _Z12conv1d_tiledIsEvPKT_PS0_ii
	.globl	_Z12conv1d_tiledIsEvPKT_PS0_ii
	.p2align	8
	.type	_Z12conv1d_tiledIsEvPKT_PS0_ii,@function
_Z12conv1d_tiledIsEvPKT_PS0_ii:         ; @_Z12conv1d_tiledIsEvPKT_PS0_ii
; %bb.0:
	s_clause 0x1
	s_load_b64 s[4:5], s[0:1], 0x10
	s_load_b32 s6, s[0:1], 0x24
	s_bfe_u32 s7, ttmp6, 0x4000c
	s_wait_xcnt 0x0
	s_load_b128 s[0:3], s[0:1], 0x0
	s_add_co_i32 s7, s7, 1
	s_and_b32 s8, ttmp6, 15
	s_mul_i32 s7, ttmp9, s7
	s_getreg_b32 s9, hwreg(HW_REG_IB_STS2, 6, 4)
	s_add_co_i32 s8, s8, s7
	s_cmp_eq_u32 s9, 0
	s_cselect_b32 s8, ttmp9, s8
	s_wait_kmcnt 0x0
	s_lshr_b32 s7, s5, 31
	s_and_b32 s6, s6, 0xffff
	s_add_co_i32 s7, s5, s7
	s_delay_alu instid0(SALU_CYCLE_1) | instskip(NEXT) | instid1(SALU_CYCLE_1)
	s_ashr_i32 s7, s7, 1
	s_sub_co_i32 s9, s6, s7
	s_delay_alu instid0(SALU_CYCLE_1)
	v_cmp_le_u32_e32 vcc_lo, s9, v0
	s_and_saveexec_b32 s9, vcc_lo
	s_cbranch_execz .LBB7_4
; %bb.1:
	s_add_co_i32 s10, s8, -1
	v_mov_b32_e32 v1, 0
	v_mad_u32 v2, s10, s6, v0
	s_mov_b32 s10, exec_lo
	s_delay_alu instid0(VALU_DEP_1)
	v_cmpx_lt_i32_e32 -1, v2
	s_cbranch_execz .LBB7_3
; %bb.2:
	global_load_u16 v1, v2, s[0:1] scale_offset
.LBB7_3:
	s_wait_xcnt 0x0
	s_or_b32 exec_lo, exec_lo, s10
	v_lshlrev_b32_e32 v2, 1, v0
	s_sub_co_i32 s10, s7, s6
	s_delay_alu instid0(SALU_CYCLE_1)
	s_lshl_b32 s10, s10, 1
	s_delay_alu instid0(VALU_DEP_1) | instid1(SALU_CYCLE_1)
	v_add3_u32 v2, 0, s10, v2
	s_wait_loadcnt 0x0
	ds_store_b16 v2, v1
.LBB7_4:
	s_or_b32 exec_lo, exec_lo, s9
	v_mad_u32 v1, s8, s6, v0
	v_lshlrev_b32_e32 v2, 1, v0
	s_lshl_b32 s8, s7, 1
	v_cmp_gt_u32_e32 vcc_lo, s7, v0
	s_delay_alu instid0(VALU_DEP_2)
	v_add3_u32 v4, 0, s8, v2
	global_load_u16 v3, v1, s[0:1] scale_offset
	s_wait_loadcnt 0x0
	ds_store_b16 v4, v3
	s_and_saveexec_b32 s7, vcc_lo
	s_cbranch_execz .LBB7_8
; %bb.5:
	v_dual_mov_b32 v3, 0 :: v_dual_add_nc_u32 v4, s6, v1
	s_delay_alu instid0(VALU_DEP_1)
	v_cmp_gt_i32_e32 vcc_lo, s4, v4
	s_and_saveexec_b32 s4, vcc_lo
	s_cbranch_execz .LBB7_7
; %bb.6:
	global_load_u16 v3, v4, s[0:1] scale_offset
.LBB7_7:
	s_wait_xcnt 0x0
	s_or_b32 exec_lo, exec_lo, s4
	s_lshl_b32 s0, s6, 1
	s_delay_alu instid0(SALU_CYCLE_1) | instskip(NEXT) | instid1(SALU_CYCLE_1)
	s_add_co_i32 s8, s8, s0
	v_add3_u32 v4, s8, 0, v2
	s_wait_loadcnt 0x0
	ds_store_b16 v4, v3
.LBB7_8:
	s_or_b32 exec_lo, exec_lo, s7
	s_cmp_lt_i32 s5, 1
	s_wait_dscnt 0x0
	s_barrier_signal -1
	s_barrier_wait -1
	s_cbranch_scc1 .LBB7_14
; %bb.9:
	s_cmp_lt_u32 s5, 4
	s_get_pc_i64 s[0:1]
	s_add_nc_u64 s[0:1], s[0:1], _Z4maskIsE@rel64+4
	s_cbranch_scc1 .LBB7_15
; %bb.10:
	v_lshl_add_u32 v0, v0, 1, 0
	v_dual_mov_b32 v3, 0 :: v_dual_mov_b32 v4, 0
	s_and_b32 s4, s5, 0x7ffffffc
	s_mov_b64 s[6:7], s[0:1]
	s_mov_b32 s8, s4
.LBB7_11:                               ; =>This Inner Loop Header: Depth=1
	ds_load_b64 v[6:7], v0
	s_load_b64 s[10:11], s[6:7], 0x0
	v_add_nc_u32_e32 v0, 8, v0
	s_add_co_i32 s8, s8, -4
	s_wait_xcnt 0x0
	s_add_nc_u64 s[6:7], s[6:7], 8
	s_cmp_lg_u32 s8, 0
	s_wait_dscnt 0x0
	s_wait_kmcnt 0x0
	v_pk_mad_u16 v4, s11, v7, v4
	v_pk_mad_u16 v3, s10, v6, v3
	s_cbranch_scc1 .LBB7_11
; %bb.12:
	s_delay_alu instid0(VALU_DEP_1) | instskip(SKIP_2) | instid1(VALU_DEP_1)
	v_pk_add_u16 v0, v3, v4
	s_cmp_lg_u32 s5, s4
	s_cselect_b32 s6, -1, 0
	v_lshrrev_b32_e32 v3, 16, v0
	s_delay_alu instid0(VALU_DEP_1)
	v_add_nc_u16 v0, v0, v3
	s_and_b32 vcc_lo, exec_lo, s6
	s_cbranch_vccnz .LBB7_16
.LBB7_13:
	global_store_b16 v1, v0, s[2:3] scale_offset
	s_endpgm
.LBB7_14:
	v_mov_b32_e32 v0, 0
	global_store_b16 v1, v0, s[2:3] scale_offset
	s_endpgm
.LBB7_15:
	v_mov_b32_e32 v0, 0
	s_mov_b32 s4, 0
	s_cbranch_execz .LBB7_13
.LBB7_16:
	s_lshl_b32 s6, s4, 1
	v_mov_b32_e32 v3, 0
	v_add3_u32 v2, 0, s6, v2
	s_mov_b32 s7, 0
	s_sub_co_i32 s4, s5, s4
	s_add_nc_u64 s[0:1], s[0:1], s[6:7]
.LBB7_17:                               ; =>This Inner Loop Header: Depth=1
	global_load_u16 v4, v3, s[0:1]
	ds_load_u16 v5, v2
	v_add_nc_u32_e32 v2, 2, v2
	s_add_co_i32 s4, s4, -1
	s_wait_xcnt 0x0
	s_add_nc_u64 s[0:1], s[0:1], 2
	s_cmp_eq_u32 s4, 0
	s_wait_loadcnt_dscnt 0x0
	v_mad_u16 v0, v4, v5, v0
	s_cbranch_scc0 .LBB7_17
	s_branch .LBB7_13
	.section	.rodata,"a",@progbits
	.p2align	6, 0x0
	.amdhsa_kernel _Z12conv1d_tiledIsEvPKT_PS0_ii
		.amdhsa_group_segment_fixed_size 0
		.amdhsa_private_segment_fixed_size 0
		.amdhsa_kernarg_size 280
		.amdhsa_user_sgpr_count 2
		.amdhsa_user_sgpr_dispatch_ptr 0
		.amdhsa_user_sgpr_queue_ptr 0
		.amdhsa_user_sgpr_kernarg_segment_ptr 1
		.amdhsa_user_sgpr_dispatch_id 0
		.amdhsa_user_sgpr_kernarg_preload_length 0
		.amdhsa_user_sgpr_kernarg_preload_offset 0
		.amdhsa_user_sgpr_private_segment_size 0
		.amdhsa_wavefront_size32 1
		.amdhsa_uses_dynamic_stack 0
		.amdhsa_enable_private_segment 0
		.amdhsa_system_sgpr_workgroup_id_x 1
		.amdhsa_system_sgpr_workgroup_id_y 0
		.amdhsa_system_sgpr_workgroup_id_z 0
		.amdhsa_system_sgpr_workgroup_info 0
		.amdhsa_system_vgpr_workitem_id 0
		.amdhsa_next_free_vgpr 8
		.amdhsa_next_free_sgpr 12
		.amdhsa_named_barrier_count 0
		.amdhsa_reserve_vcc 1
		.amdhsa_float_round_mode_32 0
		.amdhsa_float_round_mode_16_64 0
		.amdhsa_float_denorm_mode_32 3
		.amdhsa_float_denorm_mode_16_64 3
		.amdhsa_fp16_overflow 0
		.amdhsa_memory_ordered 1
		.amdhsa_forward_progress 1
		.amdhsa_inst_pref_size 6
		.amdhsa_round_robin_scheduling 0
		.amdhsa_exception_fp_ieee_invalid_op 0
		.amdhsa_exception_fp_denorm_src 0
		.amdhsa_exception_fp_ieee_div_zero 0
		.amdhsa_exception_fp_ieee_overflow 0
		.amdhsa_exception_fp_ieee_underflow 0
		.amdhsa_exception_fp_ieee_inexact 0
		.amdhsa_exception_int_div_zero 0
	.end_amdhsa_kernel
	.section	.text._Z12conv1d_tiledIsEvPKT_PS0_ii,"axG",@progbits,_Z12conv1d_tiledIsEvPKT_PS0_ii,comdat
.Lfunc_end7:
	.size	_Z12conv1d_tiledIsEvPKT_PS0_ii, .Lfunc_end7-_Z12conv1d_tiledIsEvPKT_PS0_ii
                                        ; -- End function
	.set _Z12conv1d_tiledIsEvPKT_PS0_ii.num_vgpr, 8
	.set _Z12conv1d_tiledIsEvPKT_PS0_ii.num_agpr, 0
	.set _Z12conv1d_tiledIsEvPKT_PS0_ii.numbered_sgpr, 12
	.set _Z12conv1d_tiledIsEvPKT_PS0_ii.num_named_barrier, 0
	.set _Z12conv1d_tiledIsEvPKT_PS0_ii.private_seg_size, 0
	.set _Z12conv1d_tiledIsEvPKT_PS0_ii.uses_vcc, 1
	.set _Z12conv1d_tiledIsEvPKT_PS0_ii.uses_flat_scratch, 0
	.set _Z12conv1d_tiledIsEvPKT_PS0_ii.has_dyn_sized_stack, 0
	.set _Z12conv1d_tiledIsEvPKT_PS0_ii.has_recursion, 0
	.set _Z12conv1d_tiledIsEvPKT_PS0_ii.has_indirect_call, 0
	.section	.AMDGPU.csdata,"",@progbits
; Kernel info:
; codeLenInByte = 676
; TotalNumSgprs: 14
; NumVgprs: 8
; ScratchSize: 0
; MemoryBound: 0
; FloatMode: 240
; IeeeMode: 1
; LDSByteSize: 0 bytes/workgroup (compile time only)
; SGPRBlocks: 0
; VGPRBlocks: 0
; NumSGPRsForWavesPerEU: 14
; NumVGPRsForWavesPerEU: 8
; NamedBarCnt: 0
; Occupancy: 16
; WaveLimiterHint : 0
; COMPUTE_PGM_RSRC2:SCRATCH_EN: 0
; COMPUTE_PGM_RSRC2:USER_SGPR: 2
; COMPUTE_PGM_RSRC2:TRAP_HANDLER: 0
; COMPUTE_PGM_RSRC2:TGID_X_EN: 1
; COMPUTE_PGM_RSRC2:TGID_Y_EN: 0
; COMPUTE_PGM_RSRC2:TGID_Z_EN: 0
; COMPUTE_PGM_RSRC2:TIDIG_COMP_CNT: 0
	.section	.text._Z20conv1d_tiled_cachingIsEvPKT_PS0_ii,"axG",@progbits,_Z20conv1d_tiled_cachingIsEvPKT_PS0_ii,comdat
	.protected	_Z20conv1d_tiled_cachingIsEvPKT_PS0_ii ; -- Begin function _Z20conv1d_tiled_cachingIsEvPKT_PS0_ii
	.globl	_Z20conv1d_tiled_cachingIsEvPKT_PS0_ii
	.p2align	8
	.type	_Z20conv1d_tiled_cachingIsEvPKT_PS0_ii,@function
_Z20conv1d_tiled_cachingIsEvPKT_PS0_ii: ; @_Z20conv1d_tiled_cachingIsEvPKT_PS0_ii
; %bb.0:
	s_clause 0x1
	s_load_b32 s2, s[0:1], 0x24
	s_load_b64 s[4:5], s[0:1], 0x0
	s_bfe_u32 s3, ttmp6, 0x4000c
	s_and_b32 s6, ttmp6, 15
	s_add_co_i32 s3, s3, 1
	s_getreg_b32 s7, hwreg(HW_REG_IB_STS2, 6, 4)
	s_mul_i32 s3, ttmp9, s3
	v_lshl_add_u32 v4, v0, 1, 0
	s_add_co_i32 s6, s6, s3
	s_wait_kmcnt 0x0
	s_and_b32 s2, s2, 0xffff
	s_cmp_eq_u32 s7, 0
	s_cselect_b32 s3, ttmp9, s6
	s_load_b64 s[6:7], s[0:1], 0x10
	s_mul_i32 s3, s3, s2
	s_delay_alu instid0(SALU_CYCLE_1)
	v_add_nc_u32_e32 v2, s3, v0
	global_load_u16 v1, v2, s[4:5] scale_offset
	v_ashrrev_i32_e32 v3, 31, v2
	s_wait_kmcnt 0x0
	s_cmp_lt_i32 s7, 1
	s_wait_loadcnt 0x0
	ds_store_b16 v4, v1
	s_wait_dscnt 0x0
	s_barrier_signal -1
	s_barrier_wait -1
	s_cbranch_scc1 .LBB8_9
; %bb.1:
	s_lshr_b32 s8, s7, 31
	v_mov_b32_e32 v1, 0
	s_add_co_i32 s8, s7, s8
	s_delay_alu instid0(SALU_CYCLE_1)
	s_ashr_i32 s10, s8, 1
	s_get_pc_i64 s[8:9]
	s_add_nc_u64 s[8:9], s[8:9], _Z4maskIsE@rel64+4
	v_subrev_nc_u32_e32 v0, s10, v0
	v_subrev_nc_u32_e32 v4, s10, v2
	s_add_co_i32 s10, s3, s2
	s_delay_alu instid0(VALU_DEP_2)
	v_lshl_add_u32 v5, v0, 1, 0
	v_mov_b32_e32 v0, 0
	s_branch .LBB8_4
.LBB8_2:                                ;   in Loop: Header=BB8_4 Depth=1
	s_or_b32 exec_lo, exec_lo, s2
	global_load_u16 v7, v1, s[8:9]
	s_wait_loadcnt_dscnt 0x0
	v_mad_u16 v0, v7, v6, v0
.LBB8_3:                                ;   in Loop: Header=BB8_4 Depth=1
	s_or_b32 exec_lo, exec_lo, s11
	v_dual_add_nc_u32 v5, 2, v5 :: v_dual_add_nc_u32 v4, 1, v4
	s_add_co_i32 s7, s7, -1
	s_add_nc_u64 s[8:9], s[8:9], 2
	s_cmp_eq_u32 s7, 0
	s_cbranch_scc1 .LBB8_10
.LBB8_4:                                ; =>This Inner Loop Header: Depth=1
	v_cmp_lt_i32_e32 vcc_lo, -1, v4
	v_cmp_gt_i32_e64 s2, s6, v4
	s_and_b32 s2, vcc_lo, s2
	s_delay_alu instid0(SALU_CYCLE_1)
	s_and_saveexec_b32 s11, s2
	s_cbranch_execz .LBB8_3
; %bb.5:                                ;   in Loop: Header=BB8_4 Depth=1
	v_cmp_gt_i32_e32 vcc_lo, s3, v4
	v_cmp_le_i32_e64 s2, s10, v4
                                        ; implicit-def: $vgpr6
	s_or_b32 s2, vcc_lo, s2
	s_delay_alu instid0(SALU_CYCLE_1) | instskip(NEXT) | instid1(SALU_CYCLE_1)
	s_and_saveexec_b32 s12, s2
	s_xor_b32 s2, exec_lo, s12
	s_cbranch_execz .LBB8_7
; %bb.6:                                ;   in Loop: Header=BB8_4 Depth=1
	global_load_u16 v6, v4, s[4:5] scale_offset
.LBB8_7:                                ;   in Loop: Header=BB8_4 Depth=1
	s_wait_xcnt 0x0
	s_and_not1_saveexec_b32 s2, s2
	s_cbranch_execz .LBB8_2
; %bb.8:                                ;   in Loop: Header=BB8_4 Depth=1
	s_wait_loadcnt 0x0
	ds_load_u16 v6, v5
	s_branch .LBB8_2
.LBB8_9:
	v_mov_b32_e32 v0, 0
.LBB8_10:
	s_load_b64 s[0:1], s[0:1], 0x8
	s_wait_kmcnt 0x0
	v_lshl_add_u64 v[2:3], v[2:3], 1, s[0:1]
	global_store_b16 v[2:3], v0, off
	s_endpgm
	.section	.rodata,"a",@progbits
	.p2align	6, 0x0
	.amdhsa_kernel _Z20conv1d_tiled_cachingIsEvPKT_PS0_ii
		.amdhsa_group_segment_fixed_size 0
		.amdhsa_private_segment_fixed_size 0
		.amdhsa_kernarg_size 280
		.amdhsa_user_sgpr_count 2
		.amdhsa_user_sgpr_dispatch_ptr 0
		.amdhsa_user_sgpr_queue_ptr 0
		.amdhsa_user_sgpr_kernarg_segment_ptr 1
		.amdhsa_user_sgpr_dispatch_id 0
		.amdhsa_user_sgpr_kernarg_preload_length 0
		.amdhsa_user_sgpr_kernarg_preload_offset 0
		.amdhsa_user_sgpr_private_segment_size 0
		.amdhsa_wavefront_size32 1
		.amdhsa_uses_dynamic_stack 0
		.amdhsa_enable_private_segment 0
		.amdhsa_system_sgpr_workgroup_id_x 1
		.amdhsa_system_sgpr_workgroup_id_y 0
		.amdhsa_system_sgpr_workgroup_id_z 0
		.amdhsa_system_sgpr_workgroup_info 0
		.amdhsa_system_vgpr_workitem_id 0
		.amdhsa_next_free_vgpr 8
		.amdhsa_next_free_sgpr 13
		.amdhsa_named_barrier_count 0
		.amdhsa_reserve_vcc 1
		.amdhsa_float_round_mode_32 0
		.amdhsa_float_round_mode_16_64 0
		.amdhsa_float_denorm_mode_32 3
		.amdhsa_float_denorm_mode_16_64 3
		.amdhsa_fp16_overflow 0
		.amdhsa_memory_ordered 1
		.amdhsa_forward_progress 1
		.amdhsa_inst_pref_size 4
		.amdhsa_round_robin_scheduling 0
		.amdhsa_exception_fp_ieee_invalid_op 0
		.amdhsa_exception_fp_denorm_src 0
		.amdhsa_exception_fp_ieee_div_zero 0
		.amdhsa_exception_fp_ieee_overflow 0
		.amdhsa_exception_fp_ieee_underflow 0
		.amdhsa_exception_fp_ieee_inexact 0
		.amdhsa_exception_int_div_zero 0
	.end_amdhsa_kernel
	.section	.text._Z20conv1d_tiled_cachingIsEvPKT_PS0_ii,"axG",@progbits,_Z20conv1d_tiled_cachingIsEvPKT_PS0_ii,comdat
.Lfunc_end8:
	.size	_Z20conv1d_tiled_cachingIsEvPKT_PS0_ii, .Lfunc_end8-_Z20conv1d_tiled_cachingIsEvPKT_PS0_ii
                                        ; -- End function
	.set _Z20conv1d_tiled_cachingIsEvPKT_PS0_ii.num_vgpr, 8
	.set _Z20conv1d_tiled_cachingIsEvPKT_PS0_ii.num_agpr, 0
	.set _Z20conv1d_tiled_cachingIsEvPKT_PS0_ii.numbered_sgpr, 13
	.set _Z20conv1d_tiled_cachingIsEvPKT_PS0_ii.num_named_barrier, 0
	.set _Z20conv1d_tiled_cachingIsEvPKT_PS0_ii.private_seg_size, 0
	.set _Z20conv1d_tiled_cachingIsEvPKT_PS0_ii.uses_vcc, 1
	.set _Z20conv1d_tiled_cachingIsEvPKT_PS0_ii.uses_flat_scratch, 0
	.set _Z20conv1d_tiled_cachingIsEvPKT_PS0_ii.has_dyn_sized_stack, 0
	.set _Z20conv1d_tiled_cachingIsEvPKT_PS0_ii.has_recursion, 0
	.set _Z20conv1d_tiled_cachingIsEvPKT_PS0_ii.has_indirect_call, 0
	.section	.AMDGPU.csdata,"",@progbits
; Kernel info:
; codeLenInByte = 416
; TotalNumSgprs: 15
; NumVgprs: 8
; ScratchSize: 0
; MemoryBound: 0
; FloatMode: 240
; IeeeMode: 1
; LDSByteSize: 0 bytes/workgroup (compile time only)
; SGPRBlocks: 0
; VGPRBlocks: 0
; NumSGPRsForWavesPerEU: 15
; NumVGPRsForWavesPerEU: 8
; NamedBarCnt: 0
; Occupancy: 16
; WaveLimiterHint : 0
; COMPUTE_PGM_RSRC2:SCRATCH_EN: 0
; COMPUTE_PGM_RSRC2:USER_SGPR: 2
; COMPUTE_PGM_RSRC2:TRAP_HANDLER: 0
; COMPUTE_PGM_RSRC2:TGID_X_EN: 1
; COMPUTE_PGM_RSRC2:TGID_Y_EN: 0
; COMPUTE_PGM_RSRC2:TGID_Z_EN: 0
; COMPUTE_PGM_RSRC2:TIDIG_COMP_CNT: 0
	.section	.AMDGPU.gpr_maximums,"",@progbits
	.set amdgpu.max_num_vgpr, 0
	.set amdgpu.max_num_agpr, 0
	.set amdgpu.max_num_sgpr, 0
	.section	.AMDGPU.csdata,"",@progbits
	.protected	_Z4maskIdE              ; @_Z4maskIdE
	.type	_Z4maskIdE,@object
	.section	.rodata._Z4maskIdE,"aG",@progbits,_Z4maskIdE,comdat
	.weak	_Z4maskIdE
	.p2align	4, 0x0
_Z4maskIdE:
	.zero	80
	.size	_Z4maskIdE, 80

	.protected	_Z4maskIfE              ; @_Z4maskIfE
	.type	_Z4maskIfE,@object
	.section	.rodata._Z4maskIfE,"aG",@progbits,_Z4maskIfE,comdat
	.weak	_Z4maskIfE
	.p2align	4, 0x0
_Z4maskIfE:
	.zero	40
	.size	_Z4maskIfE, 40

	.protected	_Z4maskIsE              ; @_Z4maskIsE
	.type	_Z4maskIsE,@object
	.section	.rodata._Z4maskIsE,"aG",@progbits,_Z4maskIsE,comdat
	.weak	_Z4maskIsE
	.p2align	4, 0x0
_Z4maskIsE:
	.zero	20
	.size	_Z4maskIsE, 20

	.type	__hip_cuid_ff7839e5dce6882e,@object ; @__hip_cuid_ff7839e5dce6882e
	.section	.bss,"aw",@nobits
	.globl	__hip_cuid_ff7839e5dce6882e
__hip_cuid_ff7839e5dce6882e:
	.byte	0                               ; 0x0
	.size	__hip_cuid_ff7839e5dce6882e, 1

	.ident	"AMD clang version 22.0.0git (https://github.com/RadeonOpenCompute/llvm-project roc-7.2.4 26084 f58b06dce1f9c15707c5f808fd002e18c2accf7e)"
	.section	".note.GNU-stack","",@progbits
	.addrsig
	.addrsig_sym _Z4maskIdE
	.addrsig_sym _Z4maskIfE
	.addrsig_sym _Z4maskIsE
	.addrsig_sym __hip_cuid_ff7839e5dce6882e
	.amdgpu_metadata
---
amdhsa.kernels:
  - .args:
      - .actual_access:  read_only
        .address_space:  global
        .offset:         0
        .size:           8
        .value_kind:     global_buffer
      - .actual_access:  write_only
        .address_space:  global
        .offset:         8
        .size:           8
        .value_kind:     global_buffer
      - .offset:         16
        .size:           4
        .value_kind:     by_value
      - .offset:         20
        .size:           4
        .value_kind:     by_value
      - .offset:         24
        .size:           4
        .value_kind:     hidden_block_count_x
      - .offset:         28
        .size:           4
        .value_kind:     hidden_block_count_y
      - .offset:         32
        .size:           4
        .value_kind:     hidden_block_count_z
      - .offset:         36
        .size:           2
        .value_kind:     hidden_group_size_x
      - .offset:         38
        .size:           2
        .value_kind:     hidden_group_size_y
      - .offset:         40
        .size:           2
        .value_kind:     hidden_group_size_z
      - .offset:         42
        .size:           2
        .value_kind:     hidden_remainder_x
      - .offset:         44
        .size:           2
        .value_kind:     hidden_remainder_y
      - .offset:         46
        .size:           2
        .value_kind:     hidden_remainder_z
      - .offset:         64
        .size:           8
        .value_kind:     hidden_global_offset_x
      - .offset:         72
        .size:           8
        .value_kind:     hidden_global_offset_y
      - .offset:         80
        .size:           8
        .value_kind:     hidden_global_offset_z
      - .offset:         88
        .size:           2
        .value_kind:     hidden_grid_dims
    .group_segment_fixed_size: 0
    .kernarg_segment_align: 8
    .kernarg_segment_size: 280
    .language:       OpenCL C
    .language_version:
      - 2
      - 0
    .max_flat_workgroup_size: 1024
    .name:           _Z6conv1dIdEvPKT_PS0_ii
    .private_segment_fixed_size: 0
    .sgpr_count:     14
    .sgpr_spill_count: 0
    .symbol:         _Z6conv1dIdEvPKT_PS0_ii.kd
    .uniform_work_group_size: 1
    .uses_dynamic_stack: false
    .vgpr_count:     6
    .vgpr_spill_count: 0
    .wavefront_size: 32
  - .args:
      - .actual_access:  read_only
        .address_space:  global
        .offset:         0
        .size:           8
        .value_kind:     global_buffer
      - .actual_access:  write_only
        .address_space:  global
        .offset:         8
        .size:           8
        .value_kind:     global_buffer
      - .offset:         16
        .size:           4
        .value_kind:     by_value
      - .offset:         20
        .size:           4
        .value_kind:     by_value
      - .offset:         24
        .size:           4
        .value_kind:     hidden_block_count_x
      - .offset:         28
        .size:           4
        .value_kind:     hidden_block_count_y
      - .offset:         32
        .size:           4
        .value_kind:     hidden_block_count_z
      - .offset:         36
        .size:           2
        .value_kind:     hidden_group_size_x
      - .offset:         38
        .size:           2
        .value_kind:     hidden_group_size_y
      - .offset:         40
        .size:           2
        .value_kind:     hidden_group_size_z
      - .offset:         42
        .size:           2
        .value_kind:     hidden_remainder_x
      - .offset:         44
        .size:           2
        .value_kind:     hidden_remainder_y
      - .offset:         46
        .size:           2
        .value_kind:     hidden_remainder_z
      - .offset:         64
        .size:           8
        .value_kind:     hidden_global_offset_x
      - .offset:         72
        .size:           8
        .value_kind:     hidden_global_offset_y
      - .offset:         80
        .size:           8
        .value_kind:     hidden_global_offset_z
      - .offset:         88
        .size:           2
        .value_kind:     hidden_grid_dims
      - .offset:         144
        .size:           4
        .value_kind:     hidden_dynamic_lds_size
    .group_segment_fixed_size: 0
    .kernarg_segment_align: 8
    .kernarg_segment_size: 280
    .language:       OpenCL C
    .language_version:
      - 2
      - 0
    .max_flat_workgroup_size: 1024
    .name:           _Z12conv1d_tiledIdEvPKT_PS0_ii
    .private_segment_fixed_size: 0
    .sgpr_count:     13
    .sgpr_spill_count: 0
    .symbol:         _Z12conv1d_tiledIdEvPKT_PS0_ii.kd
    .uniform_work_group_size: 1
    .uses_dynamic_stack: false
    .vgpr_count:     6
    .vgpr_spill_count: 0
    .wavefront_size: 32
  - .args:
      - .actual_access:  read_only
        .address_space:  global
        .offset:         0
        .size:           8
        .value_kind:     global_buffer
      - .actual_access:  write_only
        .address_space:  global
        .offset:         8
        .size:           8
        .value_kind:     global_buffer
      - .offset:         16
        .size:           4
        .value_kind:     by_value
      - .offset:         20
        .size:           4
        .value_kind:     by_value
      - .offset:         24
        .size:           4
        .value_kind:     hidden_block_count_x
      - .offset:         28
        .size:           4
        .value_kind:     hidden_block_count_y
      - .offset:         32
        .size:           4
        .value_kind:     hidden_block_count_z
      - .offset:         36
        .size:           2
        .value_kind:     hidden_group_size_x
      - .offset:         38
        .size:           2
        .value_kind:     hidden_group_size_y
      - .offset:         40
        .size:           2
        .value_kind:     hidden_group_size_z
      - .offset:         42
        .size:           2
        .value_kind:     hidden_remainder_x
      - .offset:         44
        .size:           2
        .value_kind:     hidden_remainder_y
      - .offset:         46
        .size:           2
        .value_kind:     hidden_remainder_z
      - .offset:         64
        .size:           8
        .value_kind:     hidden_global_offset_x
      - .offset:         72
        .size:           8
        .value_kind:     hidden_global_offset_y
      - .offset:         80
        .size:           8
        .value_kind:     hidden_global_offset_z
      - .offset:         88
        .size:           2
        .value_kind:     hidden_grid_dims
      - .offset:         144
        .size:           4
        .value_kind:     hidden_dynamic_lds_size
    .group_segment_fixed_size: 0
    .kernarg_segment_align: 8
    .kernarg_segment_size: 280
    .language:       OpenCL C
    .language_version:
      - 2
      - 0
    .max_flat_workgroup_size: 1024
    .name:           _Z20conv1d_tiled_cachingIdEvPKT_PS0_ii
    .private_segment_fixed_size: 0
    .sgpr_count:     16
    .sgpr_spill_count: 0
    .symbol:         _Z20conv1d_tiled_cachingIdEvPKT_PS0_ii.kd
    .uniform_work_group_size: 1
    .uses_dynamic_stack: false
    .vgpr_count:     8
    .vgpr_spill_count: 0
    .wavefront_size: 32
  - .args:
      - .actual_access:  read_only
        .address_space:  global
        .offset:         0
        .size:           8
        .value_kind:     global_buffer
      - .actual_access:  write_only
        .address_space:  global
        .offset:         8
        .size:           8
        .value_kind:     global_buffer
      - .offset:         16
        .size:           4
        .value_kind:     by_value
      - .offset:         20
        .size:           4
        .value_kind:     by_value
      - .offset:         24
        .size:           4
        .value_kind:     hidden_block_count_x
      - .offset:         28
        .size:           4
        .value_kind:     hidden_block_count_y
      - .offset:         32
        .size:           4
        .value_kind:     hidden_block_count_z
      - .offset:         36
        .size:           2
        .value_kind:     hidden_group_size_x
      - .offset:         38
        .size:           2
        .value_kind:     hidden_group_size_y
      - .offset:         40
        .size:           2
        .value_kind:     hidden_group_size_z
      - .offset:         42
        .size:           2
        .value_kind:     hidden_remainder_x
      - .offset:         44
        .size:           2
        .value_kind:     hidden_remainder_y
      - .offset:         46
        .size:           2
        .value_kind:     hidden_remainder_z
      - .offset:         64
        .size:           8
        .value_kind:     hidden_global_offset_x
      - .offset:         72
        .size:           8
        .value_kind:     hidden_global_offset_y
      - .offset:         80
        .size:           8
        .value_kind:     hidden_global_offset_z
      - .offset:         88
        .size:           2
        .value_kind:     hidden_grid_dims
    .group_segment_fixed_size: 0
    .kernarg_segment_align: 8
    .kernarg_segment_size: 280
    .language:       OpenCL C
    .language_version:
      - 2
      - 0
    .max_flat_workgroup_size: 1024
    .name:           _Z6conv1dIfEvPKT_PS0_ii
    .private_segment_fixed_size: 0
    .sgpr_count:     12
    .sgpr_spill_count: 0
    .symbol:         _Z6conv1dIfEvPKT_PS0_ii.kd
    .uniform_work_group_size: 1
    .uses_dynamic_stack: false
    .vgpr_count:     4
    .vgpr_spill_count: 0
    .wavefront_size: 32
  - .args:
      - .actual_access:  read_only
        .address_space:  global
        .offset:         0
        .size:           8
        .value_kind:     global_buffer
      - .actual_access:  write_only
        .address_space:  global
        .offset:         8
        .size:           8
        .value_kind:     global_buffer
      - .offset:         16
        .size:           4
        .value_kind:     by_value
      - .offset:         20
        .size:           4
        .value_kind:     by_value
      - .offset:         24
        .size:           4
        .value_kind:     hidden_block_count_x
      - .offset:         28
        .size:           4
        .value_kind:     hidden_block_count_y
      - .offset:         32
        .size:           4
        .value_kind:     hidden_block_count_z
      - .offset:         36
        .size:           2
        .value_kind:     hidden_group_size_x
      - .offset:         38
        .size:           2
        .value_kind:     hidden_group_size_y
      - .offset:         40
        .size:           2
        .value_kind:     hidden_group_size_z
      - .offset:         42
        .size:           2
        .value_kind:     hidden_remainder_x
      - .offset:         44
        .size:           2
        .value_kind:     hidden_remainder_y
      - .offset:         46
        .size:           2
        .value_kind:     hidden_remainder_z
      - .offset:         64
        .size:           8
        .value_kind:     hidden_global_offset_x
      - .offset:         72
        .size:           8
        .value_kind:     hidden_global_offset_y
      - .offset:         80
        .size:           8
        .value_kind:     hidden_global_offset_z
      - .offset:         88
        .size:           2
        .value_kind:     hidden_grid_dims
      - .offset:         144
        .size:           4
        .value_kind:     hidden_dynamic_lds_size
    .group_segment_fixed_size: 0
    .kernarg_segment_align: 8
    .kernarg_segment_size: 280
    .language:       OpenCL C
    .language_version:
      - 2
      - 0
    .max_flat_workgroup_size: 1024
    .name:           _Z12conv1d_tiledIfEvPKT_PS0_ii
    .private_segment_fixed_size: 0
    .sgpr_count:     13
    .sgpr_spill_count: 0
    .symbol:         _Z12conv1d_tiledIfEvPKT_PS0_ii.kd
    .uniform_work_group_size: 1
    .uses_dynamic_stack: false
    .vgpr_count:     5
    .vgpr_spill_count: 0
    .wavefront_size: 32
  - .args:
      - .actual_access:  read_only
        .address_space:  global
        .offset:         0
        .size:           8
        .value_kind:     global_buffer
      - .actual_access:  write_only
        .address_space:  global
        .offset:         8
        .size:           8
        .value_kind:     global_buffer
      - .offset:         16
        .size:           4
        .value_kind:     by_value
      - .offset:         20
        .size:           4
        .value_kind:     by_value
      - .offset:         24
        .size:           4
        .value_kind:     hidden_block_count_x
      - .offset:         28
        .size:           4
        .value_kind:     hidden_block_count_y
      - .offset:         32
        .size:           4
        .value_kind:     hidden_block_count_z
      - .offset:         36
        .size:           2
        .value_kind:     hidden_group_size_x
      - .offset:         38
        .size:           2
        .value_kind:     hidden_group_size_y
      - .offset:         40
        .size:           2
        .value_kind:     hidden_group_size_z
      - .offset:         42
        .size:           2
        .value_kind:     hidden_remainder_x
      - .offset:         44
        .size:           2
        .value_kind:     hidden_remainder_y
      - .offset:         46
        .size:           2
        .value_kind:     hidden_remainder_z
      - .offset:         64
        .size:           8
        .value_kind:     hidden_global_offset_x
      - .offset:         72
        .size:           8
        .value_kind:     hidden_global_offset_y
      - .offset:         80
        .size:           8
        .value_kind:     hidden_global_offset_z
      - .offset:         88
        .size:           2
        .value_kind:     hidden_grid_dims
      - .offset:         144
        .size:           4
        .value_kind:     hidden_dynamic_lds_size
    .group_segment_fixed_size: 0
    .kernarg_segment_align: 8
    .kernarg_segment_size: 280
    .language:       OpenCL C
    .language_version:
      - 2
      - 0
    .max_flat_workgroup_size: 1024
    .name:           _Z20conv1d_tiled_cachingIfEvPKT_PS0_ii
    .private_segment_fixed_size: 0
    .sgpr_count:     15
    .sgpr_spill_count: 0
    .symbol:         _Z20conv1d_tiled_cachingIfEvPKT_PS0_ii.kd
    .uniform_work_group_size: 1
    .uses_dynamic_stack: false
    .vgpr_count:     6
    .vgpr_spill_count: 0
    .wavefront_size: 32
  - .args:
      - .actual_access:  read_only
        .address_space:  global
        .offset:         0
        .size:           8
        .value_kind:     global_buffer
      - .actual_access:  write_only
        .address_space:  global
        .offset:         8
        .size:           8
        .value_kind:     global_buffer
      - .offset:         16
        .size:           4
        .value_kind:     by_value
      - .offset:         20
        .size:           4
        .value_kind:     by_value
      - .offset:         24
        .size:           4
        .value_kind:     hidden_block_count_x
      - .offset:         28
        .size:           4
        .value_kind:     hidden_block_count_y
      - .offset:         32
        .size:           4
        .value_kind:     hidden_block_count_z
      - .offset:         36
        .size:           2
        .value_kind:     hidden_group_size_x
      - .offset:         38
        .size:           2
        .value_kind:     hidden_group_size_y
      - .offset:         40
        .size:           2
        .value_kind:     hidden_group_size_z
      - .offset:         42
        .size:           2
        .value_kind:     hidden_remainder_x
      - .offset:         44
        .size:           2
        .value_kind:     hidden_remainder_y
      - .offset:         46
        .size:           2
        .value_kind:     hidden_remainder_z
      - .offset:         64
        .size:           8
        .value_kind:     hidden_global_offset_x
      - .offset:         72
        .size:           8
        .value_kind:     hidden_global_offset_y
      - .offset:         80
        .size:           8
        .value_kind:     hidden_global_offset_z
      - .offset:         88
        .size:           2
        .value_kind:     hidden_grid_dims
    .group_segment_fixed_size: 0
    .kernarg_segment_align: 8
    .kernarg_segment_size: 280
    .language:       OpenCL C
    .language_version:
      - 2
      - 0
    .max_flat_workgroup_size: 1024
    .name:           _Z6conv1dIsEvPKT_PS0_ii
    .private_segment_fixed_size: 0
    .sgpr_count:     12
    .sgpr_spill_count: 0
    .symbol:         _Z6conv1dIsEvPKT_PS0_ii.kd
    .uniform_work_group_size: 1
    .uses_dynamic_stack: false
    .vgpr_count:     6
    .vgpr_spill_count: 0
    .wavefront_size: 32
  - .args:
      - .actual_access:  read_only
        .address_space:  global
        .offset:         0
        .size:           8
        .value_kind:     global_buffer
      - .actual_access:  write_only
        .address_space:  global
        .offset:         8
        .size:           8
        .value_kind:     global_buffer
      - .offset:         16
        .size:           4
        .value_kind:     by_value
      - .offset:         20
        .size:           4
        .value_kind:     by_value
      - .offset:         24
        .size:           4
        .value_kind:     hidden_block_count_x
      - .offset:         28
        .size:           4
        .value_kind:     hidden_block_count_y
      - .offset:         32
        .size:           4
        .value_kind:     hidden_block_count_z
      - .offset:         36
        .size:           2
        .value_kind:     hidden_group_size_x
      - .offset:         38
        .size:           2
        .value_kind:     hidden_group_size_y
      - .offset:         40
        .size:           2
        .value_kind:     hidden_group_size_z
      - .offset:         42
        .size:           2
        .value_kind:     hidden_remainder_x
      - .offset:         44
        .size:           2
        .value_kind:     hidden_remainder_y
      - .offset:         46
        .size:           2
        .value_kind:     hidden_remainder_z
      - .offset:         64
        .size:           8
        .value_kind:     hidden_global_offset_x
      - .offset:         72
        .size:           8
        .value_kind:     hidden_global_offset_y
      - .offset:         80
        .size:           8
        .value_kind:     hidden_global_offset_z
      - .offset:         88
        .size:           2
        .value_kind:     hidden_grid_dims
      - .offset:         144
        .size:           4
        .value_kind:     hidden_dynamic_lds_size
    .group_segment_fixed_size: 0
    .kernarg_segment_align: 8
    .kernarg_segment_size: 280
    .language:       OpenCL C
    .language_version:
      - 2
      - 0
    .max_flat_workgroup_size: 1024
    .name:           _Z12conv1d_tiledIsEvPKT_PS0_ii
    .private_segment_fixed_size: 0
    .sgpr_count:     14
    .sgpr_spill_count: 0
    .symbol:         _Z12conv1d_tiledIsEvPKT_PS0_ii.kd
    .uniform_work_group_size: 1
    .uses_dynamic_stack: false
    .vgpr_count:     8
    .vgpr_spill_count: 0
    .wavefront_size: 32
  - .args:
      - .actual_access:  read_only
        .address_space:  global
        .offset:         0
        .size:           8
        .value_kind:     global_buffer
      - .actual_access:  write_only
        .address_space:  global
        .offset:         8
        .size:           8
        .value_kind:     global_buffer
      - .offset:         16
        .size:           4
        .value_kind:     by_value
      - .offset:         20
        .size:           4
        .value_kind:     by_value
      - .offset:         24
        .size:           4
        .value_kind:     hidden_block_count_x
      - .offset:         28
        .size:           4
        .value_kind:     hidden_block_count_y
      - .offset:         32
        .size:           4
        .value_kind:     hidden_block_count_z
      - .offset:         36
        .size:           2
        .value_kind:     hidden_group_size_x
      - .offset:         38
        .size:           2
        .value_kind:     hidden_group_size_y
      - .offset:         40
        .size:           2
        .value_kind:     hidden_group_size_z
      - .offset:         42
        .size:           2
        .value_kind:     hidden_remainder_x
      - .offset:         44
        .size:           2
        .value_kind:     hidden_remainder_y
      - .offset:         46
        .size:           2
        .value_kind:     hidden_remainder_z
      - .offset:         64
        .size:           8
        .value_kind:     hidden_global_offset_x
      - .offset:         72
        .size:           8
        .value_kind:     hidden_global_offset_y
      - .offset:         80
        .size:           8
        .value_kind:     hidden_global_offset_z
      - .offset:         88
        .size:           2
        .value_kind:     hidden_grid_dims
      - .offset:         144
        .size:           4
        .value_kind:     hidden_dynamic_lds_size
    .group_segment_fixed_size: 0
    .kernarg_segment_align: 8
    .kernarg_segment_size: 280
    .language:       OpenCL C
    .language_version:
      - 2
      - 0
    .max_flat_workgroup_size: 1024
    .name:           _Z20conv1d_tiled_cachingIsEvPKT_PS0_ii
    .private_segment_fixed_size: 0
    .sgpr_count:     15
    .sgpr_spill_count: 0
    .symbol:         _Z20conv1d_tiled_cachingIsEvPKT_PS0_ii.kd
    .uniform_work_group_size: 1
    .uses_dynamic_stack: false
    .vgpr_count:     8
    .vgpr_spill_count: 0
    .wavefront_size: 32
amdhsa.target:   amdgcn-amd-amdhsa--gfx1250
amdhsa.version:
  - 1
  - 2
...

	.end_amdgpu_metadata
